;; amdgpu-corpus repo=ROCm/rocFFT kind=compiled arch=gfx906 opt=O3
	.text
	.amdgcn_target "amdgcn-amd-amdhsa--gfx906"
	.amdhsa_code_object_version 6
	.protected	bluestein_single_back_len340_dim1_dp_op_CI_CI ; -- Begin function bluestein_single_back_len340_dim1_dp_op_CI_CI
	.globl	bluestein_single_back_len340_dim1_dp_op_CI_CI
	.p2align	8
	.type	bluestein_single_back_len340_dim1_dp_op_CI_CI,@function
bluestein_single_back_len340_dim1_dp_op_CI_CI: ; @bluestein_single_back_len340_dim1_dp_op_CI_CI
; %bb.0:
	s_mov_b64 s[66:67], s[2:3]
	v_mul_u32_u24_e32 v1, 0x788, v0
	s_mov_b64 s[64:65], s[0:1]
	s_load_dwordx4 s[0:3], s[4:5], 0x28
	v_lshrrev_b32_e32 v1, 16, v1
	s_add_u32 s64, s64, s7
	v_mad_u64_u32 v[160:161], s[6:7], s6, 3, v[1:2]
	v_mov_b32_e32 v161, 0
	s_addc_u32 s65, s65, 0
	s_waitcnt lgkmcnt(0)
	v_cmp_gt_u64_e32 vcc, s[0:1], v[160:161]
	s_and_saveexec_b64 s[0:1], vcc
	s_cbranch_execz .LBB0_15
; %bb.1:
	s_mov_b32 s0, 0xaaaaaaab
	v_mul_hi_u32 v2, v160, s0
	v_mul_lo_u16_e32 v1, 34, v1
	s_load_dwordx2 s[12:13], s[4:5], 0x0
	s_load_dwordx2 s[14:15], s[4:5], 0x38
	v_sub_u16_e32 v152, v0, v1
	v_lshrrev_b32_e32 v0, 1, v2
	v_lshl_add_u32 v0, v0, 1, v0
	v_sub_u32_e32 v0, v160, v0
	v_mul_u32_u24_e32 v255, 0x154, v0
	v_cmp_gt_u16_e32 vcc, 20, v152
	v_lshlrev_b32_e32 v153, 4, v152
	v_lshlrev_b32_e32 v154, 4, v255
	s_and_saveexec_b64 s[6:7], vcc
	s_cbranch_execz .LBB0_3
; %bb.2:
	s_load_dwordx2 s[0:1], s[4:5], 0x18
	v_or_b32_e32 v62, 0xa0, v152
	s_waitcnt lgkmcnt(0)
	v_mov_b32_e32 v63, s13
	v_mov_b32_e32 v70, 0x280
	v_or_b32_e32 v134, 0x140, v152
	s_load_dwordx4 s[8:11], s[0:1], 0x0
	s_waitcnt lgkmcnt(0)
	v_mad_u64_u32 v[0:1], s[0:1], s10, v160, 0
	v_mad_u64_u32 v[2:3], s[0:1], s8, v152, 0
	;; [unrolled: 1-line block ×4, first 2 shown]
	v_mov_b32_e32 v1, v4
	v_lshlrev_b64 v[0:1], 4, v[0:1]
	v_mov_b32_e32 v3, v5
	v_mov_b32_e32 v6, s3
	v_lshlrev_b64 v[2:3], 4, v[2:3]
	v_add_co_u32_e64 v16, s[0:1], s2, v0
	v_addc_co_u32_e64 v17, s[0:1], v6, v1, s[0:1]
	v_add_co_u32_e64 v18, s[0:1], v16, v2
	v_addc_co_u32_e64 v19, s[0:1], v17, v3, s[0:1]
	s_mul_i32 s0, s9, 0x140
	s_mul_hi_u32 s3, s8, 0x140
	s_add_i32 s3, s3, s0
	s_mul_i32 s2, s8, 0x140
	v_mov_b32_e32 v0, s3
	v_add_co_u32_e64 v20, s[0:1], s2, v18
	v_addc_co_u32_e64 v21, s[0:1], v19, v0, s[0:1]
	global_load_dwordx4 v[0:3], v[18:19], off
	global_load_dwordx4 v[4:7], v[20:21], off
	global_load_dwordx4 v[8:11], v153, s[12:13]
	global_load_dwordx4 v[12:15], v153, s[12:13] offset:320
	v_mov_b32_e32 v18, s3
	v_add_co_u32_e64 v34, s[0:1], s2, v20
	v_addc_co_u32_e64 v35, s[0:1], v21, v18, s[0:1]
	v_add_co_u32_e64 v36, s[0:1], s2, v34
	v_addc_co_u32_e64 v37, s[0:1], v35, v18, s[0:1]
	global_load_dwordx4 v[18:21], v[34:35], off
	global_load_dwordx4 v[22:25], v[36:37], off
	global_load_dwordx4 v[26:29], v153, s[12:13] offset:640
	global_load_dwordx4 v[30:33], v153, s[12:13] offset:960
	v_mov_b32_e32 v34, s3
	v_add_co_u32_e64 v38, s[0:1], s2, v36
	v_addc_co_u32_e64 v39, s[0:1], v37, v34, s[0:1]
	v_mov_b32_e32 v40, s3
	v_add_co_u32_e64 v58, s[0:1], s2, v38
	v_addc_co_u32_e64 v59, s[0:1], v39, v40, s[0:1]
	v_mad_u64_u32 v[60:61], s[0:1], s8, v62, 0
	v_mov_b32_e32 v64, s3
	v_mov_b32_e32 v84, s3
	v_mad_u64_u32 v[61:62], s[0:1], s9, v62, v[61:62]
	v_add_co_u32_e64 v112, s[0:1], s12, v153
	v_addc_co_u32_e64 v113, s[0:1], 0, v63, s[0:1]
	v_mov_b32_e32 v63, s3
	v_add_co_u32_e64 v62, s[0:1], s2, v58
	v_addc_co_u32_e64 v63, s[0:1], v59, v63, s[0:1]
	v_add_co_u32_e64 v68, s[0:1], s2, v62
	v_lshlrev_b64 v[66:67], 4, v[60:61]
	v_addc_co_u32_e64 v69, s[0:1], v63, v64, s[0:1]
	v_mad_u64_u32 v[82:83], s[0:1], s8, v70, v[68:69]
	v_add_co_u32_e64 v66, s[0:1], v16, v66
	v_addc_co_u32_e64 v67, s[0:1], v17, v67, s[0:1]
	s_mul_i32 s0, s9, 0x280
	v_add_u32_e32 v83, s0, v83
	v_add_co_u32_e64 v86, s[0:1], s2, v82
	v_addc_co_u32_e64 v87, s[0:1], v83, v84, s[0:1]
	global_load_dwordx4 v[34:37], v[38:39], off
	v_mov_b32_e32 v88, s3
	v_add_co_u32_e64 v98, s[0:1], s2, v86
	v_addc_co_u32_e64 v99, s[0:1], v87, v88, s[0:1]
	global_load_dwordx4 v[38:41], v153, s[12:13] offset:1280
	global_load_dwordx4 v[42:45], v153, s[12:13] offset:1600
	global_load_dwordx4 v[46:49], v[58:59], off
	v_mov_b32_e32 v100, s3
	v_add_co_u32_e64 v106, s[0:1], s2, v98
	v_addc_co_u32_e64 v107, s[0:1], v99, v100, s[0:1]
	v_mov_b32_e32 v108, s3
	v_add_co_u32_e64 v110, s[0:1], s2, v106
	v_addc_co_u32_e64 v111, s[0:1], v107, v108, s[0:1]
	global_load_dwordx4 v[50:53], v153, s[12:13] offset:1920
	global_load_dwordx4 v[54:57], v153, s[12:13] offset:2240
	global_load_dwordx4 v[58:61], v[62:63], off
	s_movk_i32 s0, 0x1000
	global_load_dwordx4 v[62:65], v[68:69], off
	v_add_co_u32_e64 v126, s[0:1], s0, v112
	global_load_dwordx4 v[66:69], v[66:67], off
	v_addc_co_u32_e64 v127, s[0:1], 0, v113, s[0:1]
	global_load_dwordx4 v[70:73], v[82:83], off
	global_load_dwordx4 v[74:77], v153, s[12:13] offset:2560
	global_load_dwordx4 v[78:81], v153, s[12:13] offset:2880
	v_mov_b32_e32 v112, s3
	v_add_co_u32_e64 v122, s[0:1], s2, v110
	v_addc_co_u32_e64 v123, s[0:1], v111, v112, s[0:1]
	v_mad_u64_u32 v[130:131], s[0:1], s8, v134, 0
	v_mov_b32_e32 v125, s3
	global_load_dwordx4 v[82:85], v[86:87], off
	v_mov_b32_e32 v124, v131
	v_mad_u64_u32 v[131:132], s[0:1], s9, v134, v[124:125]
	global_load_dwordx4 v[86:89], v[98:99], off
	global_load_dwordx4 v[90:93], v153, s[12:13] offset:3200
	global_load_dwordx4 v[94:97], v153, s[12:13] offset:3520
	s_nop 0
	global_load_dwordx4 v[98:101], v[106:107], off
	global_load_dwordx4 v[102:105], v153, s[12:13] offset:3840
	v_lshlrev_b64 v[130:131], 4, v[130:131]
	global_load_dwordx4 v[106:109], v[110:111], off
	s_waitcnt vmcnt(20)
	v_mul_f64 v[140:141], v[20:21], v[28:29]
	global_load_dwordx4 v[110:113], v[122:123], off
	v_add_co_u32_e64 v122, s[0:1], s2, v122
	v_addc_co_u32_e64 v123, s[0:1], v123, v125, s[0:1]
	v_add_co_u32_e64 v16, s[0:1], v16, v130
	global_load_dwordx4 v[114:117], v[126:127], off offset:64
	global_load_dwordx4 v[118:121], v[126:127], off offset:384
	v_addc_co_u32_e64 v17, s[0:1], v17, v131, s[0:1]
	global_load_dwordx4 v[122:125], v[122:123], off
	s_nop 0
	global_load_dwordx4 v[126:129], v[126:127], off offset:704
	v_mul_f64 v[28:29], v[18:19], v[28:29]
	global_load_dwordx4 v[130:133], v[16:17], off
	v_lshlrev_b32_e32 v16, 4, v134
	global_load_dwordx4 v[134:137], v16, s[12:13]
	v_mul_f64 v[16:17], v[2:3], v[10:11]
	v_mul_f64 v[10:11], v[0:1], v[10:11]
	;; [unrolled: 1-line block ×4, first 2 shown]
	s_waitcnt vmcnt(26)
	v_mul_f64 v[142:143], v[24:25], v[32:33]
	v_mul_f64 v[32:33], v[22:23], v[32:33]
	v_fma_f64 v[0:1], v[0:1], v[8:9], v[16:17]
	v_fma_f64 v[2:3], v[2:3], v[8:9], -v[10:11]
	v_fma_f64 v[8:9], v[18:19], v[26:27], v[140:141]
	v_fma_f64 v[10:11], v[20:21], v[26:27], -v[28:29]
	;; [unrolled: 2-line block ×4, first 2 shown]
	s_waitcnt vmcnt(24)
	v_mul_f64 v[144:145], v[36:37], v[40:41]
	v_mul_f64 v[40:41], v[34:35], v[40:41]
	s_waitcnt vmcnt(22)
	v_mul_f64 v[146:147], v[48:49], v[44:45]
	v_mul_f64 v[44:45], v[46:47], v[44:45]
	v_fma_f64 v[16:17], v[34:35], v[38:39], v[144:145]
	v_fma_f64 v[18:19], v[36:37], v[38:39], -v[40:41]
	v_fma_f64 v[20:21], v[46:47], v[42:43], v[146:147]
	v_fma_f64 v[22:23], v[48:49], v[42:43], -v[44:45]
	v_add_u32_e32 v38, v154, v153
	s_waitcnt vmcnt(19)
	v_mul_f64 v[26:27], v[60:61], v[52:53]
	v_mul_f64 v[28:29], v[58:59], v[52:53]
	s_waitcnt vmcnt(18)
	v_mul_f64 v[30:31], v[64:65], v[56:57]
	v_mul_f64 v[32:33], v[62:63], v[56:57]
	;; [unrolled: 3-line block ×3, first 2 shown]
	v_fma_f64 v[24:25], v[58:59], v[50:51], v[26:27]
	v_fma_f64 v[26:27], v[60:61], v[50:51], -v[28:29]
	v_lshl_add_u32 v28, v152, 4, v154
	ds_write_b128 v28, v[0:3]
	v_fma_f64 v[0:1], v[62:63], v[54:55], v[30:31]
	v_fma_f64 v[2:3], v[64:65], v[54:55], -v[32:33]
	v_fma_f64 v[28:29], v[66:67], v[74:75], v[34:35]
	v_fma_f64 v[30:31], v[68:69], v[74:75], -v[36:37]
	ds_write_b128 v38, v[4:7] offset:320
	ds_write_b128 v38, v[8:11] offset:640
	;; [unrolled: 1-line block ×8, first 2 shown]
	s_waitcnt vmcnt(14)
	v_mul_f64 v[0:1], v[72:73], v[80:81]
	v_mul_f64 v[2:3], v[70:71], v[80:81]
	s_waitcnt vmcnt(11)
	v_mul_f64 v[4:5], v[84:85], v[92:93]
	v_mul_f64 v[6:7], v[82:83], v[92:93]
	s_waitcnt vmcnt(10)
	v_mul_f64 v[8:9], v[88:89], v[96:97]
	v_mul_f64 v[10:11], v[86:87], v[96:97]
	s_waitcnt vmcnt(8)
	v_mul_f64 v[12:13], v[100:101], v[104:105]
	v_mul_f64 v[14:15], v[98:99], v[104:105]
	v_fma_f64 v[0:1], v[70:71], v[78:79], v[0:1]
	v_fma_f64 v[2:3], v[72:73], v[78:79], -v[2:3]
	v_fma_f64 v[4:5], v[82:83], v[90:91], v[4:5]
	v_fma_f64 v[6:7], v[84:85], v[90:91], -v[6:7]
	;; [unrolled: 2-line block ×3, first 2 shown]
	s_waitcnt vmcnt(5)
	v_mul_f64 v[16:17], v[108:109], v[116:117]
	v_mul_f64 v[18:19], v[106:107], v[116:117]
	s_waitcnt vmcnt(4)
	v_mul_f64 v[20:21], v[112:113], v[120:121]
	v_mul_f64 v[22:23], v[110:111], v[120:121]
	;; [unrolled: 3-line block ×3, first 2 shown]
	v_fma_f64 v[12:13], v[98:99], v[102:103], v[12:13]
	v_fma_f64 v[14:15], v[100:101], v[102:103], -v[14:15]
	s_waitcnt vmcnt(0)
	v_mul_f64 v[28:29], v[132:133], v[136:137]
	v_mul_f64 v[30:31], v[130:131], v[136:137]
	v_fma_f64 v[16:17], v[106:107], v[114:115], v[16:17]
	v_fma_f64 v[18:19], v[108:109], v[114:115], -v[18:19]
	v_fma_f64 v[20:21], v[110:111], v[118:119], v[20:21]
	v_fma_f64 v[22:23], v[112:113], v[118:119], -v[22:23]
	;; [unrolled: 2-line block ×4, first 2 shown]
	ds_write_b128 v38, v[0:3] offset:2880
	ds_write_b128 v38, v[4:7] offset:3200
	;; [unrolled: 1-line block ×8, first 2 shown]
.LBB0_3:
	s_or_b64 exec, exec, s[6:7]
	s_load_dwordx2 s[0:1], s[4:5], 0x20
	s_load_dwordx2 s[2:3], s[4:5], 0x8
	s_waitcnt lgkmcnt(0)
	s_barrier
	s_waitcnt lgkmcnt(0)
                                        ; implicit-def: $vgpr28_vgpr29
                                        ; implicit-def: $vgpr84_vgpr85
                                        ; implicit-def: $vgpr88_vgpr89
                                        ; implicit-def: $vgpr92_vgpr93
                                        ; implicit-def: $vgpr80_vgpr81
                                        ; implicit-def: $vgpr76_vgpr77
                                        ; implicit-def: $vgpr40_vgpr41
                                        ; implicit-def: $vgpr32_vgpr33
                                        ; implicit-def: $vgpr36_vgpr37
                                        ; implicit-def: $vgpr44_vgpr45
                                        ; implicit-def: $vgpr48_vgpr49
                                        ; implicit-def: $vgpr52_vgpr53
                                        ; implicit-def: $vgpr56_vgpr57
                                        ; implicit-def: $vgpr60_vgpr61
                                        ; implicit-def: $vgpr64_vgpr65
                                        ; implicit-def: $vgpr68_vgpr69
                                        ; implicit-def: $vgpr72_vgpr73
	s_and_saveexec_b64 s[4:5], vcc
	s_cbranch_execz .LBB0_5
; %bb.4:
	v_lshl_add_u32 v0, v255, 4, v153
	ds_read_b128 v[28:31], v0
	ds_read_b128 v[84:87], v0 offset:320
	ds_read_b128 v[88:91], v0 offset:640
	;; [unrolled: 1-line block ×16, first 2 shown]
.LBB0_5:
	s_or_b64 exec, exec, s[4:5]
	s_waitcnt lgkmcnt(0)
	v_add_f64 v[134:135], v[84:85], -v[72:73]
	s_mov_b32 s16, 0x5d8e7cdc
	s_mov_b32 s17, 0xbfd71e95
	v_add_f64 v[189:190], v[82:83], -v[62:63]
	v_add_f64 v[201:202], v[80:81], -v[60:61]
	s_mov_b32 s28, 0xeb564b22
	s_mov_b32 s29, 0xbfefdd0d
	v_add_f64 v[142:143], v[86:87], -v[74:75]
	v_mul_f64 v[2:3], v[134:135], s[16:17]
	v_add_f64 v[104:105], v[84:85], v[72:73]
	v_add_f64 v[106:107], v[86:87], v[74:75]
	v_mul_f64 v[8:9], v[189:190], s[28:29]
	v_mul_f64 v[10:11], v[201:202], s[28:29]
	v_add_f64 v[173:174], v[90:91], -v[70:71]
	v_add_f64 v[156:157], v[88:89], -v[68:69]
	v_mul_f64 v[16:17], v[142:143], s[16:17]
	buffer_store_dword v2, off, s[64:67], 0 offset:120 ; 4-byte Folded Spill
	s_nop 0
	buffer_store_dword v3, off, s[64:67], 0 offset:124 ; 4-byte Folded Spill
	buffer_store_dword v8, off, s[64:67], 0 offset:128 ; 4-byte Folded Spill
	s_nop 0
	buffer_store_dword v9, off, s[64:67], 0 offset:132 ; 4-byte Folded Spill
	;; [unrolled: 3-line block ×3, first 2 shown]
	s_mov_b32 s4, 0x370991
	s_mov_b32 s22, 0x2a9d6da3
	;; [unrolled: 1-line block ×4, first 2 shown]
	v_fma_f64 v[0:1], v[104:105], s[4:5], v[16:17]
	v_add_f64 v[114:115], v[88:89], v[68:69]
	v_add_f64 v[116:117], v[90:91], v[70:71]
	v_mul_f64 v[130:131], v[173:174], s[22:23]
	v_mul_f64 v[138:139], v[156:157], s[22:23]
	v_add_f64 v[185:186], v[94:95], -v[66:67]
	v_add_f64 v[175:176], v[92:93], -v[64:65]
	s_mov_b32 s6, 0x75d4884
	s_mov_b32 s26, 0x7c9e640b
	;; [unrolled: 1-line block ×4, first 2 shown]
	v_add_f64 v[0:1], v[28:29], v[0:1]
	v_fma_f64 v[4:5], v[114:115], s[6:7], v[130:131]
	v_fma_f64 v[6:7], v[116:117], s[6:7], -v[138:139]
	v_add_f64 v[120:121], v[92:93], v[64:65]
	v_add_f64 v[122:123], v[94:95], v[66:67]
	v_mul_f64 v[22:23], v[185:186], s[26:27]
	v_mul_f64 v[140:141], v[175:176], s[26:27]
	s_mov_b32 s8, 0x2b2883cd
	s_mov_b32 s9, 0x3fdc86fa
	v_add_f64 v[0:1], v[4:5], v[0:1]
	v_add_f64 v[132:133], v[80:81], v[60:61]
	;; [unrolled: 1-line block ×3, first 2 shown]
	v_add_f64 v[215:216], v[78:79], -v[58:59]
	v_fma_f64 v[4:5], v[120:121], s[8:9], v[22:23]
	v_add_f64 v[225:226], v[76:77], -v[56:57]
	s_mov_b32 s10, 0x3259b75e
	s_mov_b32 s36, 0x923c349f
	;; [unrolled: 1-line block ×4, first 2 shown]
	v_add_f64 v[144:145], v[76:77], v[56:57]
	v_add_f64 v[146:147], v[78:79], v[58:59]
	;; [unrolled: 1-line block ×3, first 2 shown]
	v_add_f64 v[237:238], v[42:43], -v[54:55]
	v_add_f64 v[231:232], v[40:41], -v[52:53]
	s_mov_b32 s18, 0xc61f0d01
	s_mov_b32 s38, 0x6c9a05f6
	;; [unrolled: 1-line block ×4, first 2 shown]
	v_add_f64 v[148:149], v[40:41], v[52:53]
	v_add_f64 v[150:151], v[42:43], v[54:55]
	v_add_f64 v[251:252], v[34:35], -v[50:51]
	v_add_f64 v[249:250], v[32:33], -v[48:49]
	s_mov_b32 s24, 0x6ed5f1bb
	s_mov_b32 s40, 0x4363dd80
	;; [unrolled: 1-line block ×4, first 2 shown]
	v_add_f64 v[161:162], v[32:33], v[48:49]
	v_add_f64 v[165:166], v[34:35], v[50:51]
	s_mov_b32 s20, 0x910ea3b9
	s_mov_b32 s21, 0xbfeb34fa
	v_mul_f64 v[18:19], v[185:186], s[38:39]
	v_mul_f64 v[20:21], v[175:176], s[38:39]
	v_add_f64 v[126:127], v[38:39], -v[46:47]
	v_add_f64 v[112:113], v[36:37], -v[44:45]
	s_mov_b32 s42, 0xacd6c6b4
	s_mov_b32 s43, 0xbfc7851a
	v_add_f64 v[179:180], v[36:37], v[44:45]
	v_add_f64 v[181:182], v[38:39], v[46:47]
	s_mov_b32 s30, 0x7faef3
	s_mov_b32 s31, 0xbfef7484
	v_mul_f64 v[12:13], v[126:127], s[42:43]
	v_mul_f64 v[14:15], v[112:113], s[42:43]
	s_mov_b32 s45, 0x3fe0d888
	s_mov_b32 s44, s40
	v_mul_f64 v[24:25], v[142:143], s[26:27]
	v_mul_f64 v[26:27], v[134:135], s[26:27]
	s_mov_b32 s47, 0x3feec746
	s_mov_b32 s46, s36
	s_mov_b32 s55, 0x3fc7851a
	v_fma_f64 v[2:3], v[106:107], s[4:5], -v[2:3]
	s_mov_b32 s54, s42
	s_mov_b32 s49, 0x3feca52d
	v_fma_f64 v[4:5], v[132:133], s[10:11], v[8:9]
	v_mul_f64 v[8:9], v[215:216], s[36:37]
	s_mov_b32 s48, s26
	s_mov_b32 s51, 0x3fe58eea
	;; [unrolled: 1-line block ×3, first 2 shown]
	v_add_f64 v[2:3], v[30:31], v[2:3]
	buffer_store_dword v8, off, s[64:67], 0 offset:160 ; 4-byte Folded Spill
	s_nop 0
	buffer_store_dword v9, off, s[64:67], 0 offset:164 ; 4-byte Folded Spill
	v_add_f64 v[0:1], v[4:5], v[0:1]
	s_mov_b32 s53, 0x3fd71e95
	s_mov_b32 s52, s16
	v_add_f64 v[2:3], v[6:7], v[2:3]
	v_fma_f64 v[6:7], v[122:123], s[8:9], -v[140:141]
	s_mov_b32 s57, 0x3fe9895b
	s_mov_b32 s56, s38
	v_mul_f64 v[158:159], v[112:113], s[50:51]
	v_mul_f64 v[163:164], v[142:143], s[36:37]
	;; [unrolled: 1-line block ×5, first 2 shown]
	v_add_f64 v[2:3], v[6:7], v[2:3]
	v_fma_f64 v[6:7], v[136:137], s[10:11], -v[10:11]
	v_mul_f64 v[10:11], v[225:226], s[36:37]
	v_mul_f64 v[171:172], v[185:186], s[50:51]
	;; [unrolled: 1-line block ×5, first 2 shown]
	buffer_store_dword v10, off, s[64:67], 0 offset:168 ; 4-byte Folded Spill
	s_nop 0
	buffer_store_dword v11, off, s[64:67], 0 offset:172 ; 4-byte Folded Spill
	v_add_f64 v[2:3], v[6:7], v[2:3]
	v_mul_f64 v[177:178], v[215:216], s[42:43]
	v_mul_f64 v[203:204], v[225:226], s[42:43]
	s_mov_b32 s59, 0x3fefdd0d
	s_mov_b32 s58, s28
	v_mul_f64 v[183:184], v[237:238], s[58:59]
	v_mul_f64 v[205:206], v[231:232], s[58:59]
	;; [unrolled: 1-line block ×31, first 2 shown]
	v_fma_f64 v[4:5], v[144:145], s[18:19], v[8:9]
	v_mul_f64 v[8:9], v[237:238], s[38:39]
	buffer_store_dword v8, off, s[64:67], 0 offset:176 ; 4-byte Folded Spill
	s_nop 0
	buffer_store_dword v9, off, s[64:67], 0 offset:180 ; 4-byte Folded Spill
	v_add_f64 v[0:1], v[4:5], v[0:1]
	v_fma_f64 v[6:7], v[146:147], s[18:19], -v[10:11]
	v_mul_f64 v[10:11], v[231:232], s[38:39]
	buffer_store_dword v10, off, s[64:67], 0 offset:184 ; 4-byte Folded Spill
	s_nop 0
	buffer_store_dword v11, off, s[64:67], 0 offset:188 ; 4-byte Folded Spill
	v_add_f64 v[2:3], v[6:7], v[2:3]
	v_fma_f64 v[4:5], v[148:149], s[24:25], v[8:9]
	v_mul_f64 v[8:9], v[251:252], s[40:41]
	buffer_store_dword v8, off, s[64:67], 0 offset:192 ; 4-byte Folded Spill
	s_nop 0
	buffer_store_dword v9, off, s[64:67], 0 offset:196 ; 4-byte Folded Spill
	v_add_f64 v[0:1], v[4:5], v[0:1]
	v_fma_f64 v[6:7], v[150:151], s[24:25], -v[10:11]
	v_mul_f64 v[10:11], v[249:250], s[40:41]
	buffer_store_dword v10, off, s[64:67], 0 offset:200 ; 4-byte Folded Spill
	s_nop 0
	buffer_store_dword v11, off, s[64:67], 0 offset:204 ; 4-byte Folded Spill
	v_add_f64 v[2:3], v[6:7], v[2:3]
	;; [unrolled: 12-line block ×3, first 2 shown]
	v_fma_f64 v[4:5], v[104:105], s[6:7], v[8:9]
	v_mul_f64 v[8:9], v[173:174], s[28:29]
	buffer_store_dword v8, off, s[64:67], 0 offset:256 ; 4-byte Folded Spill
	s_nop 0
	buffer_store_dword v9, off, s[64:67], 0 offset:260 ; 4-byte Folded Spill
	v_add_f64 v[4:5], v[28:29], v[4:5]
	v_fma_f64 v[6:7], v[106:107], s[6:7], -v[10:11]
	v_mul_f64 v[10:11], v[156:157], s[28:29]
	buffer_store_dword v10, off, s[64:67], 0 offset:360 ; 4-byte Folded Spill
	s_nop 0
	buffer_store_dword v11, off, s[64:67], 0 offset:364 ; 4-byte Folded Spill
	buffer_store_dword v18, off, s[64:67], 0 offset:272 ; 4-byte Folded Spill
	s_nop 0
	buffer_store_dword v19, off, s[64:67], 0 offset:276 ; 4-byte Folded Spill
	;; [unrolled: 3-line block ×3, first 2 shown]
	v_add_f64 v[6:7], v[30:31], v[6:7]
	buffer_store_dword v12, off, s[64:67], 0 offset:216 ; 4-byte Folded Spill
	s_nop 0
	buffer_store_dword v13, off, s[64:67], 0 offset:220 ; 4-byte Folded Spill
	buffer_store_dword v14, off, s[64:67], 0 offset:224 ; 4-byte Folded Spill
	s_nop 0
	buffer_store_dword v15, off, s[64:67], 0 offset:228 ; 4-byte Folded Spill
	v_fma_f64 v[8:9], v[114:115], s[10:11], v[8:9]
	v_add_f64 v[4:5], v[8:9], v[4:5]
	v_fma_f64 v[10:11], v[116:117], s[10:11], -v[10:11]
	v_fma_f64 v[8:9], v[120:121], s[24:25], v[18:19]
	v_mul_f64 v[18:19], v[189:190], s[42:43]
	buffer_store_dword v18, off, s[64:67], 0 offset:288 ; 4-byte Folded Spill
	s_nop 0
	buffer_store_dword v19, off, s[64:67], 0 offset:292 ; 4-byte Folded Spill
	v_add_f64 v[6:7], v[10:11], v[6:7]
	v_fma_f64 v[10:11], v[122:123], s[24:25], -v[20:21]
	v_mul_f64 v[20:21], v[201:202], s[42:43]
	buffer_store_dword v20, off, s[64:67], 0 offset:344 ; 4-byte Folded Spill
	s_nop 0
	buffer_store_dword v21, off, s[64:67], 0 offset:348 ; 4-byte Folded Spill
	v_fma_f64 v[12:13], v[179:180], s[30:31], v[12:13]
	v_fma_f64 v[14:15], v[181:182], s[30:31], -v[14:15]
	v_add_f64 v[4:5], v[8:9], v[4:5]
	v_add_f64 v[6:7], v[10:11], v[6:7]
	;; [unrolled: 1-line block ×4, first 2 shown]
	buffer_store_dword v0, off, s[64:67], 0 ; 4-byte Folded Spill
	s_nop 0
	buffer_store_dword v1, off, s[64:67], 0 offset:4 ; 4-byte Folded Spill
	buffer_store_dword v2, off, s[64:67], 0 offset:8 ; 4-byte Folded Spill
	;; [unrolled: 1-line block ×3, first 2 shown]
	v_mul_f64 v[12:13], v[173:174], s[38:39]
	v_mul_f64 v[14:15], v[156:157], s[38:39]
	v_fma_f64 v[8:9], v[132:133], s[30:31], v[18:19]
	v_mul_f64 v[18:19], v[215:216], s[44:45]
	buffer_store_dword v18, off, s[64:67], 0 offset:304 ; 4-byte Folded Spill
	s_nop 0
	buffer_store_dword v19, off, s[64:67], 0 offset:308 ; 4-byte Folded Spill
	v_add_f64 v[0:1], v[8:9], v[4:5]
	v_fma_f64 v[10:11], v[136:137], s[30:31], -v[20:21]
	v_mul_f64 v[20:21], v[225:226], s[44:45]
	buffer_store_dword v20, off, s[64:67], 0 offset:336 ; 4-byte Folded Spill
	s_nop 0
	buffer_store_dword v21, off, s[64:67], 0 offset:340 ; 4-byte Folded Spill
	buffer_store_dword v24, off, s[64:67], 0 offset:432 ; 4-byte Folded Spill
	s_nop 0
	buffer_store_dword v25, off, s[64:67], 0 offset:436 ; 4-byte Folded Spill
	;; [unrolled: 3-line block ×3, first 2 shown]
	v_add_f64 v[2:3], v[10:11], v[6:7]
	buffer_store_dword v12, off, s[64:67], 0 offset:440 ; 4-byte Folded Spill
	s_nop 0
	buffer_store_dword v13, off, s[64:67], 0 offset:444 ; 4-byte Folded Spill
	buffer_store_dword v14, off, s[64:67], 0 offset:480 ; 4-byte Folded Spill
	s_nop 0
	buffer_store_dword v15, off, s[64:67], 0 offset:484 ; 4-byte Folded Spill
	v_fma_f64 v[4:5], v[144:145], s[20:21], v[18:19]
	v_mul_f64 v[18:19], v[237:238], s[46:47]
	buffer_store_dword v18, off, s[64:67], 0 offset:312 ; 4-byte Folded Spill
	s_nop 0
	buffer_store_dword v19, off, s[64:67], 0 offset:316 ; 4-byte Folded Spill
	v_add_f64 v[0:1], v[4:5], v[0:1]
	v_fma_f64 v[6:7], v[146:147], s[20:21], -v[20:21]
	v_fma_f64 v[8:9], v[104:105], s[8:9], v[24:25]
	v_fma_f64 v[10:11], v[106:107], s[8:9], -v[26:27]
	v_mul_f64 v[20:21], v[231:232], s[46:47]
	v_mul_f64 v[24:25], v[185:186], s[54:55]
	;; [unrolled: 1-line block ×3, first 2 shown]
	buffer_store_dword v20, off, s[64:67], 0 offset:384 ; 4-byte Folded Spill
	s_nop 0
	buffer_store_dword v21, off, s[64:67], 0 offset:388 ; 4-byte Folded Spill
	buffer_store_dword v24, off, s[64:67], 0 offset:448 ; 4-byte Folded Spill
	s_nop 0
	buffer_store_dword v25, off, s[64:67], 0 offset:452 ; 4-byte Folded Spill
	;; [unrolled: 3-line block ×3, first 2 shown]
	v_add_f64 v[8:9], v[28:29], v[8:9]
	v_fma_f64 v[12:13], v[114:115], s[24:25], v[12:13]
	v_add_f64 v[10:11], v[30:31], v[10:11]
	v_fma_f64 v[14:15], v[116:117], s[24:25], -v[14:15]
	v_add_f64 v[2:3], v[6:7], v[2:3]
	v_add_f64 v[8:9], v[12:13], v[8:9]
	;; [unrolled: 1-line block ×3, first 2 shown]
	v_fma_f64 v[4:5], v[148:149], s[18:19], v[18:19]
	v_mul_f64 v[18:19], v[251:252], s[48:49]
	v_add_f64 v[0:1], v[4:5], v[0:1]
	v_fma_f64 v[6:7], v[150:151], s[18:19], -v[20:21]
	v_fma_f64 v[12:13], v[120:121], s[30:31], v[24:25]
	v_fma_f64 v[14:15], v[122:123], s[30:31], -v[26:27]
	v_mul_f64 v[24:25], v[189:190], s[46:47]
	v_mul_f64 v[26:27], v[201:202], s[46:47]
	buffer_store_dword v24, off, s[64:67], 0 offset:456 ; 4-byte Folded Spill
	s_nop 0
	buffer_store_dword v25, off, s[64:67], 0 offset:460 ; 4-byte Folded Spill
	buffer_store_dword v26, off, s[64:67], 0 offset:496 ; 4-byte Folded Spill
	s_nop 0
	buffer_store_dword v27, off, s[64:67], 0 offset:500 ; 4-byte Folded Spill
	v_mul_f64 v[20:21], v[249:250], s[48:49]
	v_add_f64 v[8:9], v[12:13], v[8:9]
	v_add_f64 v[10:11], v[14:15], v[10:11]
	buffer_store_dword v18, off, s[64:67], 0 offset:320 ; 4-byte Folded Spill
	s_nop 0
	buffer_store_dword v19, off, s[64:67], 0 offset:324 ; 4-byte Folded Spill
	buffer_store_dword v20, off, s[64:67], 0 offset:376 ; 4-byte Folded Spill
	s_nop 0
	buffer_store_dword v21, off, s[64:67], 0 offset:380 ; 4-byte Folded Spill
	v_add_f64 v[2:3], v[6:7], v[2:3]
	v_fma_f64 v[12:13], v[132:133], s[18:19], v[24:25]
	v_fma_f64 v[14:15], v[136:137], s[18:19], -v[26:27]
	v_mul_f64 v[24:25], v[215:216], s[50:51]
	v_mul_f64 v[26:27], v[225:226], s[50:51]
	buffer_store_dword v24, off, s[64:67], 0 offset:464 ; 4-byte Folded Spill
	s_nop 0
	buffer_store_dword v25, off, s[64:67], 0 offset:468 ; 4-byte Folded Spill
	buffer_store_dword v26, off, s[64:67], 0 offset:504 ; 4-byte Folded Spill
	s_nop 0
	buffer_store_dword v27, off, s[64:67], 0 offset:508 ; 4-byte Folded Spill
	v_fma_f64 v[4:5], v[161:162], s[8:9], v[18:19]
	v_fma_f64 v[6:7], v[165:166], s[8:9], -v[20:21]
	v_add_f64 v[8:9], v[12:13], v[8:9]
	v_add_f64 v[10:11], v[14:15], v[10:11]
	v_mul_f64 v[18:19], v[126:127], s[52:53]
	v_mul_f64 v[20:21], v[112:113], s[52:53]
	v_add_f64 v[0:1], v[4:5], v[0:1]
	v_add_f64 v[2:3], v[6:7], v[2:3]
	v_fma_f64 v[12:13], v[144:145], s[6:7], v[24:25]
	v_fma_f64 v[14:15], v[146:147], s[6:7], -v[26:27]
	v_mul_f64 v[24:25], v[237:238], s[16:17]
	v_mul_f64 v[26:27], v[231:232], s[16:17]
	buffer_store_dword v24, off, s[64:67], 0 offset:400 ; 4-byte Folded Spill
	s_nop 0
	buffer_store_dword v25, off, s[64:67], 0 offset:404 ; 4-byte Folded Spill
	buffer_store_dword v26, off, s[64:67], 0 offset:520 ; 4-byte Folded Spill
	s_nop 0
	buffer_store_dword v27, off, s[64:67], 0 offset:524 ; 4-byte Folded Spill
	;; [unrolled: 3-line block ×4, first 2 shown]
	v_add_f64 v[8:9], v[12:13], v[8:9]
	v_add_f64 v[10:11], v[14:15], v[10:11]
	v_fma_f64 v[12:13], v[148:149], s[4:5], v[24:25]
	v_fma_f64 v[14:15], v[150:151], s[4:5], -v[26:27]
	v_mul_f64 v[24:25], v[251:252], s[28:29]
	v_mul_f64 v[26:27], v[249:250], s[28:29]
	v_fma_f64 v[4:5], v[179:180], s[4:5], v[18:19]
	v_fma_f64 v[6:7], v[181:182], s[4:5], -v[20:21]
	buffer_store_dword v24, off, s[64:67], 0 offset:408 ; 4-byte Folded Spill
	s_nop 0
	buffer_store_dword v25, off, s[64:67], 0 offset:412 ; 4-byte Folded Spill
	buffer_store_dword v26, off, s[64:67], 0 offset:512 ; 4-byte Folded Spill
	s_nop 0
	buffer_store_dword v27, off, s[64:67], 0 offset:516 ; 4-byte Folded Spill
	v_mul_f64 v[18:19], v[126:127], s[40:41]
	v_mul_f64 v[20:21], v[112:113], s[40:41]
	v_add_f64 v[0:1], v[4:5], v[0:1]
	v_add_f64 v[2:3], v[6:7], v[2:3]
	buffer_store_dword v0, off, s[64:67], 0 offset:16 ; 4-byte Folded Spill
	s_nop 0
	buffer_store_dword v1, off, s[64:67], 0 offset:20 ; 4-byte Folded Spill
	buffer_store_dword v2, off, s[64:67], 0 offset:24 ; 4-byte Folded Spill
	;; [unrolled: 1-line block ×4, first 2 shown]
	s_nop 0
	buffer_store_dword v19, off, s[64:67], 0 offset:420 ; 4-byte Folded Spill
	buffer_store_dword v20, off, s[64:67], 0 offset:424 ; 4-byte Folded Spill
	s_nop 0
	buffer_store_dword v21, off, s[64:67], 0 offset:428 ; 4-byte Folded Spill
	v_add_f64 v[8:9], v[12:13], v[8:9]
	v_add_f64 v[10:11], v[14:15], v[10:11]
	v_fma_f64 v[12:13], v[161:162], s[10:11], v[24:25]
	v_fma_f64 v[14:15], v[165:166], s[10:11], -v[26:27]
	v_mul_f64 v[24:25], v[142:143], s[28:29]
	buffer_store_dword v24, off, s[64:67], 0 offset:536 ; 4-byte Folded Spill
	s_nop 0
	buffer_store_dword v25, off, s[64:67], 0 offset:540 ; 4-byte Folded Spill
	v_add_f64 v[0:1], v[12:13], v[8:9]
	v_add_f64 v[2:3], v[14:15], v[10:11]
	v_mul_f64 v[10:11], v[173:174], s[42:43]
	v_fma_f64 v[4:5], v[179:180], s[20:21], v[18:19]
	v_fma_f64 v[6:7], v[181:182], s[20:21], -v[20:21]
	v_add_f64 v[0:1], v[4:5], v[0:1]
	v_add_f64 v[2:3], v[6:7], v[2:3]
	buffer_store_dword v0, off, s[64:67], 0 offset:32 ; 4-byte Folded Spill
	s_nop 0
	buffer_store_dword v1, off, s[64:67], 0 offset:36 ; 4-byte Folded Spill
	buffer_store_dword v2, off, s[64:67], 0 offset:40 ; 4-byte Folded Spill
	;; [unrolled: 1-line block ×4, first 2 shown]
	s_nop 0
	buffer_store_dword v11, off, s[64:67], 0 offset:548 ; 4-byte Folded Spill
	v_mul_f64 v[4:5], v[134:135], s[28:29]
	buffer_store_dword v4, off, s[64:67], 0 offset:584 ; 4-byte Folded Spill
	s_nop 0
	buffer_store_dword v5, off, s[64:67], 0 offset:588 ; 4-byte Folded Spill
	v_fma_f64 v[8:9], v[104:105], s[10:11], v[24:25]
	v_add_f64 v[0:1], v[28:29], v[8:9]
	v_fma_f64 v[2:3], v[114:115], s[30:31], v[10:11]
	v_add_f64 v[0:1], v[2:3], v[0:1]
	v_fma_f64 v[2:3], v[106:107], s[10:11], -v[4:5]
	v_mul_f64 v[4:5], v[156:157], s[42:43]
	buffer_store_dword v4, off, s[64:67], 0 offset:592 ; 4-byte Folded Spill
	s_nop 0
	buffer_store_dword v5, off, s[64:67], 0 offset:596 ; 4-byte Folded Spill
	v_add_f64 v[2:3], v[30:31], v[2:3]
	v_fma_f64 v[4:5], v[116:117], s[30:31], -v[4:5]
	v_add_f64 v[2:3], v[4:5], v[2:3]
	v_mul_f64 v[4:5], v[185:186], s[46:47]
	buffer_store_dword v4, off, s[64:67], 0 offset:568 ; 4-byte Folded Spill
	s_nop 0
	buffer_store_dword v5, off, s[64:67], 0 offset:572 ; 4-byte Folded Spill
	v_fma_f64 v[4:5], v[120:121], s[18:19], v[4:5]
	v_add_f64 v[0:1], v[4:5], v[0:1]
	v_mul_f64 v[4:5], v[175:176], s[46:47]
	buffer_store_dword v4, off, s[64:67], 0 offset:616 ; 4-byte Folded Spill
	s_nop 0
	buffer_store_dword v5, off, s[64:67], 0 offset:620 ; 4-byte Folded Spill
	v_fma_f64 v[4:5], v[122:123], s[18:19], -v[4:5]
	v_add_f64 v[2:3], v[4:5], v[2:3]
	v_mul_f64 v[4:5], v[189:190], s[52:53]
	buffer_store_dword v4, off, s[64:67], 0 offset:560 ; 4-byte Folded Spill
	s_nop 0
	buffer_store_dword v5, off, s[64:67], 0 offset:564 ; 4-byte Folded Spill
	v_fma_f64 v[4:5], v[132:133], s[4:5], v[4:5]
	v_add_f64 v[0:1], v[4:5], v[0:1]
	v_mul_f64 v[4:5], v[201:202], s[52:53]
	buffer_store_dword v4, off, s[64:67], 0 offset:608 ; 4-byte Folded Spill
	s_nop 0
	buffer_store_dword v5, off, s[64:67], 0 offset:612 ; 4-byte Folded Spill
	;; [unrolled: 12-line block ×5, first 2 shown]
	v_fma_f64 v[4:5], v[165:166], s[24:25], -v[4:5]
	v_add_f64 v[2:3], v[4:5], v[2:3]
	v_mul_f64 v[4:5], v[126:127], s[50:51]
	buffer_store_dword v4, off, s[64:67], 0 offset:528 ; 4-byte Folded Spill
	s_nop 0
	buffer_store_dword v5, off, s[64:67], 0 offset:532 ; 4-byte Folded Spill
	v_fma_f64 v[4:5], v[179:180], s[6:7], v[4:5]
	v_add_f64 v[4:5], v[4:5], v[0:1]
	v_fma_f64 v[0:1], v[181:182], s[6:7], -v[158:159]
	v_add_f64 v[6:7], v[0:1], v[2:3]
	v_fma_f64 v[0:1], v[104:105], s[18:19], v[163:164]
	v_fma_f64 v[2:3], v[114:115], s[20:21], v[167:168]
	buffer_store_dword v4, off, s[64:67], 0 offset:48 ; 4-byte Folded Spill
	s_nop 0
	buffer_store_dword v5, off, s[64:67], 0 offset:52 ; 4-byte Folded Spill
	buffer_store_dword v6, off, s[64:67], 0 offset:56 ; 4-byte Folded Spill
	;; [unrolled: 1-line block ×3, first 2 shown]
	v_add_f64 v[0:1], v[28:29], v[0:1]
	v_fma_f64 v[4:5], v[116:117], s[20:21], -v[195:196]
	v_add_f64 v[0:1], v[2:3], v[0:1]
	v_fma_f64 v[2:3], v[106:107], s[18:19], -v[193:194]
	v_add_f64 v[2:3], v[30:31], v[2:3]
	v_add_f64 v[2:3], v[4:5], v[2:3]
	v_fma_f64 v[4:5], v[120:121], s[6:7], v[171:172]
	v_add_f64 v[0:1], v[4:5], v[0:1]
	v_fma_f64 v[4:5], v[122:123], s[6:7], -v[199:200]
	v_add_f64 v[2:3], v[4:5], v[2:3]
	v_fma_f64 v[4:5], v[132:133], s[8:9], v[169:170]
	v_add_f64 v[0:1], v[4:5], v[0:1]
	v_fma_f64 v[4:5], v[136:137], s[8:9], -v[197:198]
	;; [unrolled: 4-line block ×6, first 2 shown]
	v_add_f64 v[6:7], v[0:1], v[2:3]
	v_fma_f64 v[0:1], v[104:105], s[24:25], v[211:212]
	v_fma_f64 v[2:3], v[114:115], s[18:19], v[213:214]
	buffer_store_dword v4, off, s[64:67], 0 offset:64 ; 4-byte Folded Spill
	s_nop 0
	buffer_store_dword v5, off, s[64:67], 0 offset:68 ; 4-byte Folded Spill
	buffer_store_dword v6, off, s[64:67], 0 offset:72 ; 4-byte Folded Spill
	;; [unrolled: 1-line block ×3, first 2 shown]
	v_add_f64 v[0:1], v[28:29], v[0:1]
	v_fma_f64 v[4:5], v[116:117], s[18:19], -v[235:236]
	v_add_f64 v[0:1], v[2:3], v[0:1]
	v_fma_f64 v[2:3], v[106:107], s[24:25], -v[233:234]
	v_add_f64 v[2:3], v[30:31], v[2:3]
	v_add_f64 v[2:3], v[4:5], v[2:3]
	v_fma_f64 v[4:5], v[120:121], s[4:5], v[219:220]
	v_add_f64 v[0:1], v[4:5], v[0:1]
	v_fma_f64 v[4:5], v[122:123], s[4:5], -v[241:242]
	v_add_f64 v[2:3], v[4:5], v[2:3]
	v_fma_f64 v[4:5], v[132:133], s[20:21], v[217:218]
	v_add_f64 v[0:1], v[4:5], v[0:1]
	v_fma_f64 v[4:5], v[136:137], s[20:21], -v[239:240]
	;; [unrolled: 4-line block ×6, first 2 shown]
	v_add_f64 v[6:7], v[0:1], v[2:3]
	v_fma_f64 v[0:1], v[104:105], s[20:21], v[96:97]
	buffer_store_dword v4, off, s[64:67], 0 offset:80 ; 4-byte Folded Spill
	s_nop 0
	buffer_store_dword v5, off, s[64:67], 0 offset:84 ; 4-byte Folded Spill
	buffer_store_dword v6, off, s[64:67], 0 offset:88 ; 4-byte Folded Spill
	;; [unrolled: 1-line block ×3, first 2 shown]
	v_add_f64 v[0:1], v[28:29], v[0:1]
	v_fma_f64 v[2:3], v[114:115], s[8:9], v[98:99]
	v_mul_f64 v[4:5], v[134:135], s[40:41]
	v_mul_f64 v[6:7], v[156:157], s[48:49]
	v_add_f64 v[2:3], v[2:3], v[0:1]
	v_fma_f64 v[0:1], v[106:107], s[20:21], -v[4:5]
	v_fma_f64 v[8:9], v[116:117], s[8:9], -v[6:7]
	v_add_f64 v[0:1], v[30:31], v[0:1]
	v_add_f64 v[8:9], v[8:9], v[0:1]
	v_mul_f64 v[0:1], v[185:186], s[28:29]
	v_fma_f64 v[10:11], v[120:121], s[10:11], v[0:1]
	v_add_f64 v[2:3], v[10:11], v[2:3]
	v_mul_f64 v[10:11], v[175:176], s[28:29]
	v_fma_f64 v[12:13], v[122:123], s[10:11], -v[10:11]
	v_add_f64 v[12:13], v[12:13], v[8:9]
	v_fma_f64 v[8:9], v[132:133], s[24:25], v[100:101]
	v_add_f64 v[14:15], v[8:9], v[2:3]
	v_mul_f64 v[8:9], v[201:202], s[56:57]
	v_fma_f64 v[2:3], v[136:137], s[24:25], -v[8:9]
	v_add_f64 v[12:13], v[2:3], v[12:13]
	v_mul_f64 v[2:3], v[215:216], s[16:17]
	v_fma_f64 v[24:25], v[144:145], s[4:5], v[2:3]
	v_add_f64 v[14:15], v[24:25], v[14:15]
	v_fma_f64 v[24:25], v[146:147], s[4:5], -v[118:119]
	v_add_f64 v[12:13], v[24:25], v[12:13]
	v_fma_f64 v[24:25], v[148:149], s[30:31], v[102:103]
	v_add_f64 v[14:15], v[24:25], v[14:15]
	v_fma_f64 v[24:25], v[150:151], s[30:31], -v[124:125]
	v_add_f64 v[12:13], v[24:25], v[12:13]
	;; [unrolled: 4-line block ×3, first 2 shown]
	v_fma_f64 v[12:13], v[179:180], s[18:19], v[110:111]
	v_add_f64 v[18:19], v[12:13], v[14:15]
	v_mul_f64 v[12:13], v[112:113], s[36:37]
	v_fma_f64 v[14:15], v[181:182], s[18:19], -v[12:13]
	v_add_f64 v[20:21], v[14:15], v[26:27]
	v_mul_lo_u16_e32 v14, 17, v152
	buffer_store_dword v18, off, s[64:67], 0 offset:96 ; 4-byte Folded Spill
	s_nop 0
	buffer_store_dword v19, off, s[64:67], 0 offset:100 ; 4-byte Folded Spill
	buffer_store_dword v20, off, s[64:67], 0 offset:104 ; 4-byte Folded Spill
	;; [unrolled: 1-line block ×3, first 2 shown]
	s_waitcnt vmcnt(0)
	s_barrier
	buffer_store_dword v14, off, s[64:67], 0 offset:116 ; 4-byte Folded Spill
	s_mov_b64 s[34:35], exec
	s_and_b64 s[60:61], s[34:35], vcc
	buffer_store_dword v152, off, s[64:67], 0 offset:112 ; 4-byte Folded Spill
	s_mov_b64 exec, s[60:61]
	s_cbranch_execz .LBB0_7
; %bb.6:
	v_add_f64 v[84:85], v[28:29], v[84:85]
	v_add_f64 v[86:87], v[30:31], v[86:87]
	v_mul_f64 v[142:143], v[142:143], s[42:43]
	v_mul_f64 v[173:174], v[173:174], s[52:53]
	buffer_store_dword v130, off, s[64:67], 0 offset:656 ; 4-byte Folded Spill
	s_nop 0
	buffer_store_dword v131, off, s[64:67], 0 offset:660 ; 4-byte Folded Spill
	v_mul_f64 v[130:131], v[122:123], s[20:21]
	v_mul_f64 v[185:186], v[185:186], s[40:41]
	buffer_store_dword v22, off, s[64:67], 0 offset:648 ; 4-byte Folded Spill
	s_nop 0
	buffer_store_dword v23, off, s[64:67], 0 offset:652 ; 4-byte Folded Spill
	v_add_f64 v[84:85], v[84:85], v[88:89]
	v_mul_f64 v[88:89], v[106:107], s[30:31]
	v_add_f64 v[86:87], v[86:87], v[90:91]
	v_mul_f64 v[90:91], v[116:117], s[4:5]
	v_fma_f64 v[14:15], v[114:115], s[4:5], v[173:174]
	v_mov_b32_e32 v23, v138
	v_mov_b32_e32 v24, v139
	v_mul_f64 v[138:139], v[136:137], s[6:7]
	v_add_f64 v[92:93], v[84:85], v[92:93]
	v_fma_f64 v[84:85], v[134:135], s[54:55], v[88:89]
	v_add_f64 v[94:95], v[86:87], v[94:95]
	v_fma_f64 v[86:87], v[156:157], s[16:17], v[90:91]
	v_mul_f64 v[189:190], v[189:190], s[50:51]
	buffer_store_dword v140, off, s[64:67], 0 offset:664 ; 4-byte Folded Spill
	s_nop 0
	buffer_store_dword v141, off, s[64:67], 0 offset:668 ; 4-byte Folded Spill
	v_mul_f64 v[140:141], v[146:147], s[24:25]
	v_mov_b32_e32 v21, v17
	v_mul_f64 v[215:216], v[215:216], s[38:39]
	v_add_f64 v[84:85], v[30:31], v[84:85]
	v_mov_b32_e32 v20, v16
	v_mul_f64 v[16:17], v[150:151], s[8:9]
	v_mul_f64 v[237:238], v[237:238], s[48:49]
	v_mov_b32_e32 v22, v153
	v_mul_f64 v[152:153], v[165:166], s[18:19]
	v_mul_f64 v[251:252], v[251:252], s[36:37]
	v_mov_b32_e32 v27, v154
	v_add_f64 v[84:85], v[86:87], v[84:85]
	v_fma_f64 v[86:87], v[104:105], s[30:31], v[142:143]
	v_fma_f64 v[18:19], v[231:232], s[26:27], v[16:17]
	v_mul_f64 v[154:155], v[181:182], s[10:11]
	v_mul_f64 v[126:127], v[126:127], s[58:59]
	v_fma_f64 v[16:17], v[231:232], s[48:49], v[16:17]
	buffer_load_dword v25, off, s[64:67], 0 offset:616 ; 4-byte Folded Reload
	buffer_load_dword v26, off, s[64:67], 0 offset:620 ; 4-byte Folded Reload
	v_add_f64 v[86:87], v[28:29], v[86:87]
	v_add_f64 v[14:15], v[14:15], v[86:87]
	v_fma_f64 v[86:87], v[175:176], s[44:45], v[130:131]
	v_add_f64 v[84:85], v[86:87], v[84:85]
	v_fma_f64 v[86:87], v[120:121], s[20:21], v[185:186]
	;; [unrolled: 2-line block ×6, first 2 shown]
	v_add_f64 v[18:19], v[18:19], v[84:85]
	v_add_f64 v[14:15], v[86:87], v[14:15]
	v_fma_f64 v[84:85], v[148:149], s[8:9], v[237:238]
	v_add_f64 v[14:15], v[84:85], v[14:15]
	v_fma_f64 v[84:85], v[249:250], s[46:47], v[152:153]
	;; [unrolled: 2-line block ×6, first 2 shown]
	v_fma_f64 v[88:89], v[156:157], s[52:53], v[90:91]
	v_fma_f64 v[18:19], v[175:176], s[40:41], v[130:131]
	v_fma_f64 v[90:91], v[114:115], s[4:5], -v[173:174]
	v_mul_f64 v[134:135], v[120:121], s[24:25]
	v_mul_f64 v[130:131], v[122:123], s[8:9]
	;; [unrolled: 1-line block ×3, first 2 shown]
	v_add_f64 v[14:15], v[30:31], v[14:15]
	v_add_f64 v[14:15], v[88:89], v[14:15]
	v_fma_f64 v[88:89], v[201:202], s[50:51], v[138:139]
	v_mul_f64 v[138:139], v[132:133], s[10:11]
	v_add_f64 v[14:15], v[18:19], v[14:15]
	v_fma_f64 v[18:19], v[225:226], s[38:39], v[140:141]
	v_mul_f64 v[140:141], v[136:137], s[10:11]
	;; [unrolled: 3-line block ×4, first 2 shown]
	v_mul_f64 v[154:155], v[150:151], s[24:25]
	v_add_f64 v[14:15], v[16:17], v[14:15]
	v_fma_f64 v[16:17], v[104:105], s[30:31], -v[142:143]
	v_mul_f64 v[142:143], v[144:145], s[18:19]
	v_add_f64 v[14:15], v[88:89], v[14:15]
	v_add_f64 v[16:17], v[28:29], v[16:17]
	v_fma_f64 v[88:89], v[120:121], s[20:21], -v[185:186]
	v_add_f64 v[16:17], v[90:91], v[16:17]
	v_add_f64 v[90:91], v[18:19], v[14:15]
	v_mul_f64 v[18:19], v[122:123], s[10:11]
	v_add_f64 v[14:15], v[94:95], v[82:83]
	v_mul_f64 v[82:83], v[106:107], s[10:11]
	v_mul_f64 v[94:95], v[120:121], s[18:19]
	v_add_f64 v[16:17], v[88:89], v[16:17]
	v_fma_f64 v[88:89], v[132:133], s[6:7], -v[189:190]
	v_add_f64 v[10:11], v[10:11], v[18:19]
	v_mul_f64 v[18:19], v[106:107], s[20:21]
	v_add_f64 v[16:17], v[88:89], v[16:17]
	v_fma_f64 v[88:89], v[144:145], s[24:25], -v[215:216]
	v_add_f64 v[4:5], v[4:5], v[18:19]
	v_mul_f64 v[18:19], v[116:117], s[8:9]
	v_add_f64 v[16:17], v[88:89], v[16:17]
	v_add_f64 v[4:5], v[30:31], v[4:5]
	;; [unrolled: 1-line block ×3, first 2 shown]
	v_fma_f64 v[88:89], v[148:149], s[8:9], -v[237:238]
	v_mul_f64 v[18:19], v[106:107], s[18:19]
	v_add_f64 v[4:5], v[6:7], v[4:5]
	v_mul_f64 v[6:7], v[136:137], s[24:25]
	v_add_f64 v[16:17], v[88:89], v[16:17]
	v_fma_f64 v[88:89], v[161:162], s[18:19], -v[251:252]
	v_add_f64 v[18:19], v[193:194], v[18:19]
	v_add_f64 v[4:5], v[10:11], v[4:5]
	v_add_f64 v[6:7], v[8:9], v[6:7]
	v_mul_f64 v[8:9], v[146:147], s[4:5]
	v_mul_f64 v[10:11], v[114:115], s[8:9]
	v_add_f64 v[16:17], v[88:89], v[16:17]
	v_fma_f64 v[88:89], v[179:180], s[10:11], -v[126:127]
	v_add_f64 v[18:19], v[30:31], v[18:19]
	v_mul_f64 v[126:127], v[116:117], s[6:7]
	v_add_f64 v[4:5], v[6:7], v[4:5]
	v_add_f64 v[8:9], v[118:119], v[8:9]
	v_mul_f64 v[6:7], v[150:151], s[30:31]
	v_add_f64 v[10:11], v[10:11], -v[98:99]
	v_add_f64 v[88:89], v[88:89], v[16:17]
	v_add_f64 v[16:17], v[92:93], v[80:81]
	v_mul_f64 v[80:81], v[114:115], s[20:21]
	v_mul_f64 v[92:93], v[116:117], s[30:31]
	;; [unrolled: 1-line block ×3, first 2 shown]
	v_add_f64 v[4:5], v[8:9], v[4:5]
	v_add_f64 v[6:7], v[124:125], v[6:7]
	v_mul_f64 v[8:9], v[165:166], s[6:7]
	v_mul_f64 v[118:119], v[165:166], s[10:11]
	;; [unrolled: 1-line block ×3, first 2 shown]
	v_add_f64 v[80:81], v[80:81], -v[167:168]
	v_mul_f64 v[167:168], v[181:182], s[20:21]
	v_add_f64 v[4:5], v[6:7], v[4:5]
	v_add_f64 v[8:9], v[128:129], v[8:9]
	v_mul_f64 v[6:7], v[181:182], s[18:19]
	v_mul_f64 v[128:129], v[120:121], s[8:9]
	v_add_f64 v[4:5], v[8:9], v[4:5]
	v_mul_f64 v[8:9], v[120:121], s[10:11]
	v_add_f64 v[6:7], v[12:13], v[6:7]
	v_mul_f64 v[12:13], v[116:117], s[18:19]
	v_add_f64 v[0:1], v[8:9], -v[0:1]
	v_mul_f64 v[8:9], v[104:105], s[20:21]
	v_add_f64 v[12:13], v[235:236], v[12:13]
	v_add_f64 v[8:9], v[8:9], -v[96:97]
	v_mul_f64 v[96:97], v[104:105], s[10:11]
	v_add_f64 v[8:9], v[28:29], v[8:9]
	v_add_f64 v[8:9], v[10:11], v[8:9]
	v_mul_f64 v[10:11], v[132:133], s[24:25]
	v_add_f64 v[0:1], v[0:1], v[8:9]
	v_add_f64 v[10:11], v[10:11], -v[100:101]
	v_mul_f64 v[8:9], v[144:145], s[4:5]
	v_mul_f64 v[100:101], v[106:107], s[8:9]
	v_add_f64 v[0:1], v[10:11], v[0:1]
	v_add_f64 v[2:3], v[8:9], -v[2:3]
	v_mul_f64 v[8:9], v[148:149], s[30:31]
	v_mul_f64 v[10:11], v[106:107], s[24:25]
	;; [unrolled: 1-line block ×3, first 2 shown]
	v_add_f64 v[0:1], v[2:3], v[0:1]
	v_add_f64 v[8:9], v[8:9], -v[102:103]
	v_mul_f64 v[2:3], v[161:162], s[6:7]
	v_add_f64 v[10:11], v[233:234], v[10:11]
	v_mul_f64 v[102:103], v[116:117], s[24:25]
	v_add_f64 v[0:1], v[8:9], v[0:1]
	v_add_f64 v[2:3], v[2:3], -v[108:109]
	v_add_f64 v[10:11], v[30:31], v[10:11]
	v_mul_f64 v[8:9], v[179:180], s[18:19]
	v_mul_f64 v[108:109], v[161:162], s[24:25]
	v_add_f64 v[0:1], v[2:3], v[0:1]
	v_add_f64 v[2:3], v[6:7], v[4:5]
	v_mul_f64 v[6:7], v[122:123], s[4:5]
	v_add_f64 v[10:11], v[12:13], v[10:11]
	v_mul_f64 v[12:13], v[136:137], s[20:21]
	v_add_f64 v[8:9], v[8:9], -v[110:111]
	v_add_f64 v[4:5], v[14:15], v[78:79]
	v_mul_f64 v[14:15], v[104:105], s[24:25]
	v_mul_f64 v[78:79], v[104:105], s[18:19]
	;; [unrolled: 1-line block ×3, first 2 shown]
	v_add_f64 v[6:7], v[241:242], v[6:7]
	v_add_f64 v[12:13], v[239:240], v[12:13]
	v_add_f64 v[0:1], v[8:9], v[0:1]
	v_add_f64 v[8:9], v[16:17], v[76:77]
	v_add_f64 v[14:15], v[14:15], -v[211:212]
	v_mul_f64 v[16:17], v[114:115], s[18:19]
	v_mul_f64 v[76:77], v[116:117], s[20:21]
	v_add_f64 v[6:7], v[6:7], v[10:11]
	v_mul_f64 v[10:11], v[146:147], s[10:11]
	v_add_f64 v[78:79], v[78:79], -v[163:164]
	v_mul_f64 v[116:117], v[116:117], s[10:11]
	v_add_f64 v[8:9], v[8:9], v[40:41]
	v_add_f64 v[14:15], v[28:29], v[14:15]
	v_add_f64 v[16:17], v[16:17], -v[213:214]
	v_add_f64 v[76:77], v[195:196], v[76:77]
	v_add_f64 v[6:7], v[12:13], v[6:7]
	;; [unrolled: 1-line block ×3, first 2 shown]
	v_mul_f64 v[12:13], v[150:151], s[6:7]
	v_add_f64 v[78:79], v[28:29], v[78:79]
	v_add_f64 v[4:5], v[4:5], v[42:43]
	;; [unrolled: 1-line block ×4, first 2 shown]
	v_mul_f64 v[16:17], v[132:133], s[20:21]
	v_add_f64 v[18:19], v[76:77], v[18:19]
	v_add_f64 v[6:7], v[10:11], v[6:7]
	;; [unrolled: 1-line block ×3, first 2 shown]
	v_mul_f64 v[10:11], v[165:166], s[30:31]
	v_mul_f64 v[76:77], v[136:137], s[8:9]
	v_add_f64 v[78:79], v[80:81], v[78:79]
	v_mul_f64 v[80:81], v[132:133], s[8:9]
	v_add_f64 v[16:17], v[16:17], -v[217:218]
	v_add_f64 v[4:5], v[4:5], v[34:35]
	v_add_f64 v[8:9], v[8:9], v[36:37]
	;; [unrolled: 1-line block ×5, first 2 shown]
	v_mul_f64 v[12:13], v[181:182], s[8:9]
	v_add_f64 v[80:81], v[80:81], -v[169:170]
	v_mul_f64 v[169:170], v[179:180], s[20:21]
	v_add_f64 v[4:5], v[4:5], v[38:39]
	v_add_f64 v[8:9], v[8:9], v[44:45]
	v_mul_f64 v[163:164], v[181:182], s[30:31]
	v_add_f64 v[6:7], v[10:11], v[6:7]
	v_mul_f64 v[10:11], v[120:121], s[4:5]
	v_add_f64 v[12:13], v[253:254], v[12:13]
	v_add_f64 v[4:5], v[4:5], v[46:47]
	;; [unrolled: 1-line block ×3, first 2 shown]
	v_add_f64 v[10:11], v[10:11], -v[219:220]
	v_add_f64 v[6:7], v[12:13], v[6:7]
	v_add_f64 v[4:5], v[4:5], v[50:51]
	;; [unrolled: 1-line block ×4, first 2 shown]
	v_mul_f64 v[14:15], v[144:145], s[10:11]
	v_add_f64 v[4:5], v[4:5], v[54:55]
	v_add_f64 v[8:9], v[8:9], v[56:57]
	v_add_f64 v[10:11], v[16:17], v[10:11]
	v_add_f64 v[14:15], v[14:15], -v[221:222]
	v_mul_f64 v[16:17], v[148:149], s[6:7]
	v_add_f64 v[4:5], v[4:5], v[58:59]
	v_add_f64 v[8:9], v[8:9], v[60:61]
	v_add_f64 v[10:11], v[14:15], v[10:11]
	v_add_f64 v[16:17], v[16:17], -v[223:224]
	v_mul_f64 v[14:15], v[161:162], s[30:31]
	v_add_f64 v[4:5], v[4:5], v[62:63]
	v_add_f64 v[8:9], v[8:9], v[64:65]
	v_add_f64 v[10:11], v[16:17], v[10:11]
	v_add_f64 v[14:15], v[14:15], -v[227:228]
	v_add_f64 v[4:5], v[4:5], v[66:67]
	v_mul_f64 v[16:17], v[179:180], s[8:9]
	v_add_f64 v[8:9], v[8:9], v[68:69]
	v_add_f64 v[14:15], v[14:15], v[10:11]
	v_mul_f64 v[10:11], v[122:123], s[6:7]
	v_add_f64 v[4:5], v[4:5], v[70:71]
	v_add_f64 v[16:17], v[16:17], -v[229:230]
	v_add_f64 v[10:11], v[199:200], v[10:11]
	v_add_f64 v[10:11], v[10:11], v[18:19]
	v_mul_f64 v[18:19], v[146:147], s[30:31]
	v_add_f64 v[10:11], v[76:77], v[10:11]
	v_add_f64 v[18:19], v[203:204], v[18:19]
	v_mul_f64 v[76:77], v[150:151], s[10:11]
	;; [unrolled: 3-line block ×4, first 2 shown]
	v_add_f64 v[10:11], v[18:19], v[10:11]
	v_mul_f64 v[18:19], v[120:121], s[6:7]
	v_mul_f64 v[120:121], v[120:121], s[30:31]
	v_add_f64 v[76:77], v[209:210], v[76:77]
	v_add_f64 v[18:19], v[18:19], -v[171:172]
	v_add_f64 v[10:11], v[76:77], v[10:11]
	v_add_f64 v[18:19], v[18:19], v[78:79]
	v_mul_f64 v[78:79], v[144:145], s[30:31]
	v_add_f64 v[18:19], v[80:81], v[18:19]
	v_add_f64 v[78:79], v[78:79], -v[177:178]
	v_mul_f64 v[80:81], v[148:149], s[10:11]
	v_add_f64 v[18:19], v[78:79], v[18:19]
	v_add_f64 v[80:81], v[80:81], -v[183:184]
	v_mul_f64 v[78:79], v[161:162], s[4:5]
	v_add_f64 v[18:19], v[80:81], v[18:19]
	v_add_f64 v[78:79], v[78:79], -v[187:188]
	v_mul_f64 v[80:81], v[179:180], s[24:25]
	v_add_f64 v[18:19], v[78:79], v[18:19]
	v_mul_f64 v[78:79], v[122:123], s[18:19]
	v_add_f64 v[80:81], v[80:81], -v[191:192]
	s_waitcnt vmcnt(0)
	v_add_f64 v[78:79], v[25:26], v[78:79]
	buffer_load_dword v25, off, s[64:67], 0 offset:584 ; 4-byte Folded Reload
	buffer_load_dword v26, off, s[64:67], 0 offset:588 ; 4-byte Folded Reload
	s_waitcnt vmcnt(0)
	v_add_f64 v[82:83], v[25:26], v[82:83]
	buffer_load_dword v25, off, s[64:67], 0 offset:592 ; 4-byte Folded Reload
	buffer_load_dword v26, off, s[64:67], 0 offset:596 ; 4-byte Folded Reload
	v_add_f64 v[82:83], v[30:31], v[82:83]
	s_waitcnt vmcnt(0)
	v_add_f64 v[92:93], v[25:26], v[92:93]
	buffer_load_dword v25, off, s[64:67], 0 offset:608 ; 4-byte Folded Reload
	buffer_load_dword v26, off, s[64:67], 0 offset:612 ; 4-byte Folded Reload
	v_add_f64 v[82:83], v[92:93], v[82:83]
	v_mul_f64 v[92:93], v[136:137], s[4:5]
	v_add_f64 v[78:79], v[78:79], v[82:83]
	v_mul_f64 v[82:83], v[146:147], s[8:9]
	s_waitcnt vmcnt(0)
	v_add_f64 v[92:93], v[25:26], v[92:93]
	buffer_load_dword v25, off, s[64:67], 0 offset:624 ; 4-byte Folded Reload
	buffer_load_dword v26, off, s[64:67], 0 offset:628 ; 4-byte Folded Reload
	v_add_f64 v[78:79], v[92:93], v[78:79]
	v_mul_f64 v[92:93], v[150:151], s[20:21]
	v_mul_f64 v[150:151], v[150:151], s[18:19]
	s_waitcnt vmcnt(0)
	v_add_f64 v[82:83], v[25:26], v[82:83]
	buffer_load_dword v25, off, s[64:67], 0 offset:632 ; 4-byte Folded Reload
	buffer_load_dword v26, off, s[64:67], 0 offset:636 ; 4-byte Folded Reload
	v_add_f64 v[78:79], v[82:83], v[78:79]
	v_mul_f64 v[82:83], v[165:166], s[24:25]
	s_waitcnt vmcnt(0)
	v_add_f64 v[92:93], v[25:26], v[92:93]
	buffer_load_dword v25, off, s[64:67], 0 offset:640 ; 4-byte Folded Reload
	buffer_load_dword v26, off, s[64:67], 0 offset:644 ; 4-byte Folded Reload
	v_add_f64 v[78:79], v[92:93], v[78:79]
	v_mul_f64 v[92:93], v[181:182], s[6:7]
	v_add_f64 v[92:93], v[158:159], v[92:93]
	v_mul_f64 v[158:159], v[165:166], s[8:9]
	v_mul_f64 v[165:166], v[181:182], s[4:5]
	s_waitcnt vmcnt(0)
	v_add_f64 v[82:83], v[25:26], v[82:83]
	buffer_load_dword v25, off, s[64:67], 0 offset:600 ; 4-byte Folded Reload
	buffer_load_dword v26, off, s[64:67], 0 offset:604 ; 4-byte Folded Reload
	v_add_f64 v[78:79], v[82:83], v[78:79]
	v_mul_f64 v[82:83], v[148:149], s[20:21]
	v_add_f64 v[76:77], v[92:93], v[78:79]
	s_waitcnt vmcnt(0)
	v_add_f64 v[82:83], v[82:83], -v[25:26]
	buffer_load_dword v25, off, s[64:67], 0 offset:568 ; 4-byte Folded Reload
	buffer_load_dword v26, off, s[64:67], 0 offset:572 ; 4-byte Folded Reload
	s_waitcnt vmcnt(0)
	v_add_f64 v[94:95], v[94:95], -v[25:26]
	buffer_load_dword v25, off, s[64:67], 0 offset:536 ; 4-byte Folded Reload
	buffer_load_dword v26, off, s[64:67], 0 offset:540 ; 4-byte Folded Reload
	;; [unrolled: 4-line block ×3, first 2 shown]
	v_add_f64 v[96:97], v[28:29], v[96:97]
	s_waitcnt vmcnt(0)
	v_add_f64 v[98:99], v[98:99], -v[25:26]
	buffer_load_dword v25, off, s[64:67], 0 offset:560 ; 4-byte Folded Reload
	buffer_load_dword v26, off, s[64:67], 0 offset:564 ; 4-byte Folded Reload
	v_add_f64 v[96:97], v[98:99], v[96:97]
	v_mul_f64 v[98:99], v[132:133], s[4:5]
	v_add_f64 v[94:95], v[94:95], v[96:97]
	v_mul_f64 v[96:97], v[144:145], s[8:9]
	v_mul_f64 v[144:145], v[144:145], s[20:21]
	s_waitcnt vmcnt(0)
	v_add_f64 v[98:99], v[98:99], -v[25:26]
	buffer_load_dword v25, off, s[64:67], 0 offset:576 ; 4-byte Folded Reload
	buffer_load_dword v26, off, s[64:67], 0 offset:580 ; 4-byte Folded Reload
	v_add_f64 v[94:95], v[98:99], v[94:95]
	v_mul_f64 v[98:99], v[122:123], s[30:31]
	v_mul_f64 v[122:123], v[122:123], s[24:25]
	s_waitcnt vmcnt(0)
	v_add_f64 v[96:97], v[96:97], -v[25:26]
	buffer_load_dword v25, off, s[64:67], 0 offset:488 ; 4-byte Folded Reload
	buffer_load_dword v26, off, s[64:67], 0 offset:492 ; 4-byte Folded Reload
	v_add_f64 v[94:95], v[96:97], v[94:95]
	v_mul_f64 v[96:97], v[104:105], s[4:5]
	v_add_f64 v[82:83], v[82:83], v[94:95]
	v_mul_f64 v[94:95], v[104:105], s[6:7]
	v_mul_f64 v[104:105], v[104:105], s[8:9]
	v_add_f64 v[36:37], v[96:97], -v[20:21]
	v_add_f64 v[96:97], v[23:24], v[126:127]
	v_add_f64 v[36:37], v[28:29], v[36:37]
	s_waitcnt vmcnt(0)
	v_add_f64 v[98:99], v[25:26], v[98:99]
	buffer_load_dword v25, off, s[64:67], 0 offset:472 ; 4-byte Folded Reload
	buffer_load_dword v26, off, s[64:67], 0 offset:476 ; 4-byte Folded Reload
	s_waitcnt vmcnt(0)
	v_add_f64 v[100:101], v[25:26], v[100:101]
	buffer_load_dword v25, off, s[64:67], 0 offset:480 ; 4-byte Folded Reload
	buffer_load_dword v26, off, s[64:67], 0 offset:484 ; 4-byte Folded Reload
	v_add_f64 v[100:101], v[30:31], v[100:101]
	s_waitcnt vmcnt(0)
	v_add_f64 v[102:103], v[25:26], v[102:103]
	buffer_load_dword v25, off, s[64:67], 0 offset:496 ; 4-byte Folded Reload
	buffer_load_dword v26, off, s[64:67], 0 offset:500 ; 4-byte Folded Reload
	v_add_f64 v[100:101], v[102:103], v[100:101]
	v_mul_f64 v[102:103], v[136:137], s[18:19]
	v_mul_f64 v[136:137], v[136:137], s[30:31]
	v_add_f64 v[98:99], v[98:99], v[100:101]
	v_mul_f64 v[100:101], v[146:147], s[6:7]
	v_mul_f64 v[146:147], v[146:147], s[20:21]
	s_waitcnt vmcnt(0)
	v_add_f64 v[102:103], v[25:26], v[102:103]
	buffer_load_dword v25, off, s[64:67], 0 offset:552 ; 4-byte Folded Reload
	buffer_load_dword v26, off, s[64:67], 0 offset:556 ; 4-byte Folded Reload
	v_add_f64 v[98:99], v[102:103], v[98:99]
	v_mul_f64 v[102:103], v[179:180], s[6:7]
	s_waitcnt vmcnt(0)
	v_add_f64 v[108:109], v[108:109], -v[25:26]
	buffer_load_dword v25, off, s[64:67], 0 offset:504 ; 4-byte Folded Reload
	buffer_load_dword v26, off, s[64:67], 0 offset:508 ; 4-byte Folded Reload
	v_add_f64 v[82:83], v[108:109], v[82:83]
	v_mul_f64 v[108:109], v[132:133], s[18:19]
	v_mul_f64 v[132:133], v[132:133], s[30:31]
	s_waitcnt vmcnt(0)
	v_add_f64 v[100:101], v[25:26], v[100:101]
	buffer_load_dword v25, off, s[64:67], 0 offset:520 ; 4-byte Folded Reload
	buffer_load_dword v26, off, s[64:67], 0 offset:524 ; 4-byte Folded Reload
	v_add_f64 v[98:99], v[100:101], v[98:99]
	v_mul_f64 v[100:101], v[114:115], s[6:7]
	s_waitcnt vmcnt(0)
	v_add_f64 v[110:111], v[25:26], v[110:111]
	buffer_load_dword v25, off, s[64:67], 0 offset:528 ; 4-byte Folded Reload
	buffer_load_dword v26, off, s[64:67], 0 offset:532 ; 4-byte Folded Reload
	v_add_f64 v[98:99], v[110:111], v[98:99]
	v_mul_f64 v[110:111], v[114:115], s[10:11]
	v_mul_f64 v[114:115], v[114:115], s[24:25]
	s_waitcnt vmcnt(0)
	v_add_f64 v[102:103], v[102:103], -v[25:26]
	buffer_load_dword v25, off, s[64:67], 0 offset:512 ; 4-byte Folded Reload
	buffer_load_dword v26, off, s[64:67], 0 offset:516 ; 4-byte Folded Reload
	s_waitcnt vmcnt(0)
	v_add_f64 v[118:119], v[25:26], v[118:119]
	buffer_load_dword v25, off, s[64:67], 0 offset:464 ; 4-byte Folded Reload
	buffer_load_dword v26, off, s[64:67], 0 offset:468 ; 4-byte Folded Reload
	v_add_f64 v[92:93], v[118:119], v[98:99]
	s_waitcnt vmcnt(0)
	v_add_f64 v[124:125], v[124:125], -v[25:26]
	buffer_load_dword v25, off, s[64:67], 0 offset:456 ; 4-byte Folded Reload
	buffer_load_dword v26, off, s[64:67], 0 offset:460 ; 4-byte Folded Reload
	s_waitcnt vmcnt(0)
	v_add_f64 v[108:109], v[108:109], -v[25:26]
	buffer_load_dword v25, off, s[64:67], 0 offset:432 ; 4-byte Folded Reload
	buffer_load_dword v26, off, s[64:67], 0 offset:436 ; 4-byte Folded Reload
	;; [unrolled: 4-line block ×3, first 2 shown]
	v_add_f64 v[104:105], v[28:29], v[104:105]
	s_waitcnt vmcnt(0)
	v_add_f64 v[114:115], v[114:115], -v[25:26]
	buffer_load_dword v25, off, s[64:67], 0 offset:368 ; 4-byte Folded Reload
	buffer_load_dword v26, off, s[64:67], 0 offset:372 ; 4-byte Folded Reload
	v_add_f64 v[104:105], v[114:115], v[104:105]
	v_mul_f64 v[114:115], v[148:149], s[24:25]
	s_waitcnt vmcnt(0)
	v_add_f64 v[106:107], v[25:26], v[106:107]
	buffer_load_dword v25, off, s[64:67], 0 offset:448 ; 4-byte Folded Reload
	buffer_load_dword v26, off, s[64:67], 0 offset:452 ; 4-byte Folded Reload
	v_add_f64 v[106:107], v[30:31], v[106:107]
	s_waitcnt vmcnt(0)
	v_add_f64 v[120:121], v[120:121], -v[25:26]
	buffer_load_dword v25, off, s[64:67], 0 offset:360 ; 4-byte Folded Reload
	buffer_load_dword v26, off, s[64:67], 0 offset:364 ; 4-byte Folded Reload
	v_add_f64 v[104:105], v[120:121], v[104:105]
	v_mul_f64 v[120:121], v[161:162], s[20:21]
	v_add_f64 v[104:105], v[108:109], v[104:105]
	v_mul_f64 v[108:109], v[179:180], s[30:31]
	v_add_f64 v[78:79], v[124:125], v[104:105]
	s_waitcnt vmcnt(0)
	v_add_f64 v[116:117], v[25:26], v[116:117]
	buffer_load_dword v25, off, s[64:67], 0 offset:352 ; 4-byte Folded Reload
	buffer_load_dword v26, off, s[64:67], 0 offset:356 ; 4-byte Folded Reload
	v_add_f64 v[106:107], v[116:117], v[106:107]
	v_mul_f64 v[116:117], v[148:149], s[18:19]
	v_mul_f64 v[148:149], v[148:149], s[4:5]
	s_waitcnt vmcnt(0)
	v_add_f64 v[122:123], v[25:26], v[122:123]
	buffer_load_dword v25, off, s[64:67], 0 offset:344 ; 4-byte Folded Reload
	buffer_load_dword v26, off, s[64:67], 0 offset:348 ; 4-byte Folded Reload
	v_add_f64 v[106:107], v[122:123], v[106:107]
	v_mul_f64 v[122:123], v[161:162], s[8:9]
	v_mul_f64 v[161:162], v[161:162], s[10:11]
	s_waitcnt vmcnt(0)
	v_add_f64 v[136:137], v[25:26], v[136:137]
	buffer_load_dword v25, off, s[64:67], 0 offset:336 ; 4-byte Folded Reload
	buffer_load_dword v26, off, s[64:67], 0 offset:340 ; 4-byte Folded Reload
	v_add_f64 v[106:107], v[136:137], v[106:107]
	v_mul_f64 v[136:137], v[179:180], s[4:5]
	s_waitcnt vmcnt(0)
	v_add_f64 v[146:147], v[25:26], v[146:147]
	buffer_load_dword v25, off, s[64:67], 0 offset:384 ; 4-byte Folded Reload
	buffer_load_dword v26, off, s[64:67], 0 offset:388 ; 4-byte Folded Reload
	v_add_f64 v[12:13], v[146:147], v[106:107]
	s_waitcnt vmcnt(0)
	v_add_f64 v[150:151], v[25:26], v[150:151]
	buffer_load_dword v25, off, s[64:67], 0 offset:424 ; 4-byte Folded Reload
	buffer_load_dword v26, off, s[64:67], 0 offset:428 ; 4-byte Folded Reload
	v_add_f64 v[12:13], v[150:151], v[12:13]
	s_waitcnt vmcnt(0)
	v_add_f64 v[40:41], v[25:26], v[167:168]
	buffer_load_dword v25, off, s[64:67], 0 offset:400 ; 4-byte Folded Reload
	buffer_load_dword v26, off, s[64:67], 0 offset:404 ; 4-byte Folded Reload
	s_waitcnt vmcnt(0)
	v_add_f64 v[42:43], v[148:149], -v[25:26]
	buffer_load_dword v25, off, s[64:67], 0 offset:376 ; 4-byte Folded Reload
	buffer_load_dword v26, off, s[64:67], 0 offset:380 ; 4-byte Folded Reload
	v_add_f64 v[34:35], v[42:43], v[78:79]
	s_waitcnt vmcnt(0)
	v_add_f64 v[98:99], v[25:26], v[158:159]
	buffer_load_dword v25, off, s[64:67], 0 offset:416 ; 4-byte Folded Reload
	buffer_load_dword v26, off, s[64:67], 0 offset:420 ; 4-byte Folded Reload
	v_add_f64 v[12:13], v[98:99], v[12:13]
	s_waitcnt vmcnt(0)
	v_add_f64 v[104:105], v[169:170], -v[25:26]
	buffer_load_dword v25, off, s[64:67], 0 offset:408 ; 4-byte Folded Reload
	buffer_load_dword v26, off, s[64:67], 0 offset:412 ; 4-byte Folded Reload
	s_waitcnt vmcnt(0)
	v_add_f64 v[32:33], v[161:162], -v[25:26]
	buffer_load_dword v25, off, s[64:67], 0 offset:392 ; 4-byte Folded Reload
	buffer_load_dword v26, off, s[64:67], 0 offset:396 ; 4-byte Folded Reload
	s_waitcnt vmcnt(0)
	v_add_f64 v[42:43], v[25:26], v[165:166]
	buffer_load_dword v25, off, s[64:67], 0 offset:120 ; 4-byte Folded Reload
	buffer_load_dword v26, off, s[64:67], 0 offset:124 ; 4-byte Folded Reload
	;; [unrolled: 1-line block ×4, first 2 shown]
	s_waitcnt vmcnt(2)
	v_add_f64 v[78:79], v[25:26], v[112:113]
	s_waitcnt vmcnt(0)
	v_add_f64 v[38:39], v[94:95], -v[20:21]
	buffer_load_dword v20, off, s[64:67], 0 offset:256 ; 4-byte Folded Reload
	buffer_load_dword v21, off, s[64:67], 0 offset:260 ; 4-byte Folded Reload
	v_add_f64 v[30:31], v[30:31], v[78:79]
	v_add_f64 v[28:29], v[28:29], v[38:39]
	v_add_f64 v[30:31], v[96:97], v[30:31]
	s_waitcnt vmcnt(0)
	v_add_f64 v[94:95], v[110:111], -v[20:21]
	buffer_load_dword v20, off, s[64:67], 0 offset:656 ; 4-byte Folded Reload
	buffer_load_dword v21, off, s[64:67], 0 offset:660 ; 4-byte Folded Reload
	v_add_f64 v[28:29], v[94:95], v[28:29]
	s_waitcnt vmcnt(0)
	v_add_f64 v[78:79], v[100:101], -v[20:21]
	buffer_load_dword v20, off, s[64:67], 0 offset:272 ; 4-byte Folded Reload
	buffer_load_dword v21, off, s[64:67], 0 offset:276 ; 4-byte Folded Reload
	v_add_f64 v[36:37], v[78:79], v[36:37]
	;; [unrolled: 5-line block ×3, first 2 shown]
	s_waitcnt vmcnt(0)
	v_add_f64 v[44:45], v[20:21], v[130:131]
	buffer_load_dword v20, off, s[64:67], 0 offset:648 ; 4-byte Folded Reload
	buffer_load_dword v21, off, s[64:67], 0 offset:652 ; 4-byte Folded Reload
	v_add_f64 v[30:31], v[44:45], v[30:31]
	s_waitcnt vmcnt(0)
	v_add_f64 v[46:47], v[128:129], -v[20:21]
	buffer_load_dword v20, off, s[64:67], 0 offset:288 ; 4-byte Folded Reload
	buffer_load_dword v21, off, s[64:67], 0 offset:292 ; 4-byte Folded Reload
	v_add_f64 v[36:37], v[46:47], v[36:37]
	s_waitcnt vmcnt(0)
	v_add_f64 v[48:49], v[132:133], -v[20:21]
	buffer_load_dword v20, off, s[64:67], 0 offset:144 ; 4-byte Folded Reload
	buffer_load_dword v21, off, s[64:67], 0 offset:148 ; 4-byte Folded Reload
	v_add_f64 v[28:29], v[48:49], v[28:29]
	s_waitcnt vmcnt(0)
	v_add_f64 v[50:51], v[20:21], v[140:141]
	buffer_load_dword v20, off, s[64:67], 0 offset:128 ; 4-byte Folded Reload
	buffer_load_dword v21, off, s[64:67], 0 offset:132 ; 4-byte Folded Reload
	v_add_f64 v[30:31], v[50:51], v[30:31]
	s_waitcnt vmcnt(0)
	v_add_f64 v[44:45], v[138:139], -v[20:21]
	buffer_load_dword v20, off, s[64:67], 0 offset:304 ; 4-byte Folded Reload
	buffer_load_dword v21, off, s[64:67], 0 offset:308 ; 4-byte Folded Reload
	v_add_f64 v[36:37], v[44:45], v[36:37]
	s_waitcnt vmcnt(0)
	v_add_f64 v[38:39], v[144:145], -v[20:21]
	buffer_load_dword v20, off, s[64:67], 0 offset:168 ; 4-byte Folded Reload
	buffer_load_dword v21, off, s[64:67], 0 offset:172 ; 4-byte Folded Reload
	v_add_f64 v[28:29], v[38:39], v[28:29]
	s_waitcnt vmcnt(0)
	v_add_f64 v[46:47], v[20:21], v[152:153]
	buffer_load_dword v152, off, s[64:67], 0 offset:112 ; 4-byte Folded Reload
	buffer_load_dword v20, off, s[64:67], 0 offset:160 ; 4-byte Folded Reload
	;; [unrolled: 1-line block ×3, first 2 shown]
	v_mov_b32_e32 v153, v22
	v_add_f64 v[30:31], v[46:47], v[30:31]
	s_waitcnt vmcnt(0)
	v_add_f64 v[50:51], v[142:143], -v[20:21]
	buffer_load_dword v20, off, s[64:67], 0 offset:312 ; 4-byte Folded Reload
	buffer_load_dword v21, off, s[64:67], 0 offset:316 ; 4-byte Folded Reload
	v_add_f64 v[36:37], v[50:51], v[36:37]
	s_waitcnt vmcnt(0)
	v_add_f64 v[44:45], v[116:117], -v[20:21]
	buffer_load_dword v20, off, s[64:67], 0 offset:184 ; 4-byte Folded Reload
	buffer_load_dword v21, off, s[64:67], 0 offset:188 ; 4-byte Folded Reload
	v_add_f64 v[28:29], v[44:45], v[28:29]
	s_waitcnt vmcnt(0)
	v_add_f64 v[48:49], v[20:21], v[154:155]
	buffer_load_dword v20, off, s[64:67], 0 offset:176 ; 4-byte Folded Reload
	buffer_load_dword v21, off, s[64:67], 0 offset:180 ; 4-byte Folded Reload
	v_mov_b32_e32 v154, v27
	v_add_f64 v[30:31], v[48:49], v[30:31]
	s_waitcnt vmcnt(0)
	v_add_f64 v[46:47], v[114:115], -v[20:21]
	buffer_load_dword v20, off, s[64:67], 0 offset:320 ; 4-byte Folded Reload
	buffer_load_dword v21, off, s[64:67], 0 offset:324 ; 4-byte Folded Reload
	v_add_f64 v[36:37], v[46:47], v[36:37]
	s_waitcnt vmcnt(0)
	v_add_f64 v[38:39], v[122:123], -v[20:21]
	buffer_load_dword v20, off, s[64:67], 0 offset:200 ; 4-byte Folded Reload
	buffer_load_dword v21, off, s[64:67], 0 offset:204 ; 4-byte Folded Reload
	v_add_f64 v[28:29], v[38:39], v[28:29]
	s_waitcnt vmcnt(0)
	v_add_f64 v[50:51], v[20:21], v[156:157]
	buffer_load_dword v20, off, s[64:67], 0 offset:192 ; 4-byte Folded Reload
	buffer_load_dword v21, off, s[64:67], 0 offset:196 ; 4-byte Folded Reload
	v_add_f64 v[50:51], v[50:51], v[30:31]
	v_add_f64 v[30:31], v[40:41], v[92:93]
	;; [unrolled: 1-line block ×4, first 2 shown]
	s_waitcnt vmcnt(0)
	v_add_f64 v[48:49], v[120:121], -v[20:21]
	buffer_load_dword v20, off, s[64:67], 0 offset:328 ; 4-byte Folded Reload
	buffer_load_dword v21, off, s[64:67], 0 offset:332 ; 4-byte Folded Reload
	v_add_f64 v[36:37], v[48:49], v[36:37]
	v_add_f64 v[48:49], v[32:33], v[34:35]
	;; [unrolled: 1-line block ×6, first 2 shown]
	s_waitcnt vmcnt(0)
	v_add_f64 v[44:45], v[136:137], -v[20:21]
	buffer_load_dword v20, off, s[64:67], 0 offset:224 ; 4-byte Folded Reload
	buffer_load_dword v21, off, s[64:67], 0 offset:228 ; 4-byte Folded Reload
	v_add_f64 v[32:33], v[44:45], v[28:29]
	v_add_f64 v[28:29], v[104:105], v[48:49]
	s_waitcnt vmcnt(0)
	v_add_f64 v[46:47], v[20:21], v[163:164]
	buffer_load_dword v20, off, s[64:67], 0 offset:216 ; 4-byte Folded Reload
	buffer_load_dword v21, off, s[64:67], 0 offset:220 ; 4-byte Folded Reload
	;; [unrolled: 1-line block ×3, first 2 shown]
	v_add_f64 v[38:39], v[46:47], v[50:51]
	s_waitcnt vmcnt(1)
	v_add_f64 v[52:53], v[108:109], -v[20:21]
	s_waitcnt vmcnt(0)
	v_add_lshl_u32 v12, v255, v12, 4
	v_add_f64 v[36:37], v[52:53], v[36:37]
	ds_write_b128 v12, v[40:43]
	ds_write_b128 v12, v[36:39] offset:16
	ds_write_b128 v12, v[32:35] offset:32
	ds_write_b128 v12, v[28:31] offset:48
	ds_write_b128 v12, v[74:77] offset:64
	ds_write_b128 v12, v[8:11] offset:80
	ds_write_b128 v12, v[4:7] offset:96
	ds_write_b128 v12, v[0:3] offset:112
	ds_write_b128 v12, v[88:91] offset:128
	ds_write_b128 v12, v[84:87] offset:144
	buffer_load_dword v0, off, s[64:67], 0 offset:96 ; 4-byte Folded Reload
	buffer_load_dword v1, off, s[64:67], 0 offset:100 ; 4-byte Folded Reload
	buffer_load_dword v2, off, s[64:67], 0 offset:104 ; 4-byte Folded Reload
	buffer_load_dword v3, off, s[64:67], 0 offset:108 ; 4-byte Folded Reload
	s_waitcnt vmcnt(0)
	ds_write_b128 v12, v[0:3] offset:160
	buffer_load_dword v0, off, s[64:67], 0 offset:80 ; 4-byte Folded Reload
	buffer_load_dword v1, off, s[64:67], 0 offset:84 ; 4-byte Folded Reload
	buffer_load_dword v2, off, s[64:67], 0 offset:88 ; 4-byte Folded Reload
	buffer_load_dword v3, off, s[64:67], 0 offset:92 ; 4-byte Folded Reload
	s_waitcnt vmcnt(0)
	ds_write_b128 v12, v[0:3] offset:176
	buffer_load_dword v0, off, s[64:67], 0 offset:64 ; 4-byte Folded Reload
	buffer_load_dword v1, off, s[64:67], 0 offset:68 ; 4-byte Folded Reload
	buffer_load_dword v2, off, s[64:67], 0 offset:72 ; 4-byte Folded Reload
	buffer_load_dword v3, off, s[64:67], 0 offset:76 ; 4-byte Folded Reload
	s_waitcnt vmcnt(0)
	ds_write_b128 v12, v[0:3] offset:192
	buffer_load_dword v0, off, s[64:67], 0 offset:48 ; 4-byte Folded Reload
	buffer_load_dword v1, off, s[64:67], 0 offset:52 ; 4-byte Folded Reload
	buffer_load_dword v2, off, s[64:67], 0 offset:56 ; 4-byte Folded Reload
	buffer_load_dword v3, off, s[64:67], 0 offset:60 ; 4-byte Folded Reload
	s_waitcnt vmcnt(0)
	ds_write_b128 v12, v[0:3] offset:208
	buffer_load_dword v0, off, s[64:67], 0 offset:32 ; 4-byte Folded Reload
	buffer_load_dword v1, off, s[64:67], 0 offset:36 ; 4-byte Folded Reload
	buffer_load_dword v2, off, s[64:67], 0 offset:40 ; 4-byte Folded Reload
	buffer_load_dword v3, off, s[64:67], 0 offset:44 ; 4-byte Folded Reload
	s_waitcnt vmcnt(0)
	ds_write_b128 v12, v[0:3] offset:224
	buffer_load_dword v0, off, s[64:67], 0 offset:16 ; 4-byte Folded Reload
	buffer_load_dword v1, off, s[64:67], 0 offset:20 ; 4-byte Folded Reload
	buffer_load_dword v2, off, s[64:67], 0 offset:24 ; 4-byte Folded Reload
	buffer_load_dword v3, off, s[64:67], 0 offset:28 ; 4-byte Folded Reload
	s_waitcnt vmcnt(0)
	ds_write_b128 v12, v[0:3] offset:240
	buffer_load_dword v0, off, s[64:67], 0  ; 4-byte Folded Reload
	buffer_load_dword v1, off, s[64:67], 0 offset:4 ; 4-byte Folded Reload
	buffer_load_dword v2, off, s[64:67], 0 offset:8 ; 4-byte Folded Reload
	;; [unrolled: 1-line block ×3, first 2 shown]
	s_waitcnt vmcnt(0)
	ds_write_b128 v12, v[0:3] offset:256
.LBB0_7:
	s_or_b64 exec, exec, s[34:35]
	s_load_dwordx4 s[4:7], s[0:1], 0x0
	s_movk_i32 s0, 0xffef
	v_add_co_u32_e64 v0, s[0:1], s0, v152
	v_addc_co_u32_e64 v1, s[0:1], 0, -1, s[0:1]
	v_cmp_gt_u16_e64 s[0:1], 17, v152
	v_cndmask_b32_e64 v1, v1, 0, s[0:1]
	v_cndmask_b32_e64 v0, v0, v152, s[0:1]
	v_lshlrev_b64 v[1:2], 4, v[0:1]
	v_mov_b32_e32 v3, s3
	v_add_co_u32_e64 v1, s[0:1], s2, v1
	v_addc_co_u32_e64 v2, s[0:1], v3, v2, s[0:1]
	v_add_u16_e32 v3, 34, v152
	s_movk_i32 s0, 0xf1
	v_mul_lo_u16_sdwa v4, v3, s0 dst_sel:DWORD dst_unused:UNUSED_PAD src0_sel:BYTE_0 src1_sel:DWORD
	v_lshrrev_b16_e32 v4, 12, v4
	v_mul_lo_u16_e32 v5, 17, v4
	v_sub_u16_e32 v3, v3, v5
	v_mov_b32_e32 v5, 4
	s_waitcnt vmcnt(0) lgkmcnt(0)
	s_barrier
	v_lshlrev_b32_sdwa v6, v5, v3 dst_sel:DWORD dst_unused:UNUSED_PAD src0_sel:DWORD src1_sel:BYTE_0
	global_load_dwordx4 v[148:151], v[1:2], off
	global_load_dwordx4 v[32:35], v6, s[2:3]
	v_add_u16_e32 v1, 0x44, v152
	v_mul_lo_u16_sdwa v2, v1, s0 dst_sel:DWORD dst_unused:UNUSED_PAD src0_sel:BYTE_0 src1_sel:DWORD
	v_lshrrev_b16_e32 v2, 12, v2
	v_mul_lo_u16_e32 v6, 17, v2
	v_sub_u16_e32 v13, v1, v6
	v_add_u16_e32 v6, 0x66, v152
	v_mul_lo_u16_sdwa v7, v6, s0 dst_sel:DWORD dst_unused:UNUSED_PAD src0_sel:BYTE_0 src1_sel:DWORD
	v_lshrrev_b16_e32 v19, 12, v7
	v_mul_lo_u16_e32 v7, 17, v19
	v_lshlrev_b32_sdwa v1, v5, v13 dst_sel:DWORD dst_unused:UNUSED_PAD src0_sel:DWORD src1_sel:BYTE_0
	v_sub_u16_e32 v20, v6, v7
	v_lshlrev_b32_sdwa v6, v5, v20 dst_sel:DWORD dst_unused:UNUSED_PAD src0_sel:DWORD src1_sel:BYTE_0
	global_load_dwordx4 v[40:43], v1, s[2:3]
	global_load_dwordx4 v[36:39], v6, s[2:3]
	v_add_u16_e32 v1, 0x88, v152
	v_mul_lo_u16_sdwa v6, v1, s0 dst_sel:DWORD dst_unused:UNUSED_PAD src0_sel:BYTE_0 src1_sel:DWORD
	v_lshrrev_b16_e32 v21, 12, v6
	v_mul_lo_u16_e32 v6, 17, v21
	v_sub_u16_e32 v22, v1, v6
	v_lshlrev_b32_sdwa v1, v5, v22 dst_sel:DWORD dst_unused:UNUSED_PAD src0_sel:DWORD src1_sel:BYTE_0
	global_load_dwordx4 v[44:47], v1, s[2:3]
	v_add_lshl_u32 v1, v255, v152, 4
	v_cmp_lt_u16_e64 s[0:1], 16, v152
	ds_read_b128 v[5:8], v1
	ds_read_b128 v[9:12], v1 offset:544
	ds_read_b128 v[48:51], v1 offset:3264
	;; [unrolled: 1-line block ×9, first 2 shown]
	v_cndmask_b32_e64 v14, 0, 34, s[0:1]
	v_mul_u32_u24_e32 v2, 34, v2
	v_add_u32_e32 v0, v0, v14
	v_add_u32_sdwa v2, v2, v13 dst_sel:DWORD dst_unused:UNUSED_PAD src0_sel:DWORD src1_sel:BYTE_0
	v_add_lshl_u32 v157, v255, v0, 4
	v_mad_legacy_u16 v0, v4, 34, v3
	v_and_b32_e32 v0, 0xff, v0
	s_waitcnt vmcnt(0) lgkmcnt(0)
	s_barrier
	v_add_lshl_u32 v155, v255, v2, 4
	v_add_lshl_u32 v156, v255, v0, 4
	v_mul_u32_u24_e32 v0, 34, v19
	s_movk_i32 s0, 0x90
	v_add_u32_sdwa v0, v0, v20 dst_sel:DWORD dst_unused:UNUSED_PAD src0_sel:DWORD src1_sel:BYTE_0
	v_add_lshl_u32 v158, v255, v0, 4
	v_mul_u32_u24_e32 v0, 34, v21
	v_add_u32_sdwa v0, v0, v22 dst_sel:DWORD dst_unused:UNUSED_PAD src0_sel:DWORD src1_sel:BYTE_0
	v_add_lshl_u32 v159, v255, v0, 4
	s_mov_b32 s11, 0xbfee6f0e
	s_mov_b32 s17, 0xbfe2cf23
	;; [unrolled: 1-line block ×6, first 2 shown]
	v_lshl_add_u32 v255, v152, 4, v154
	v_lshl_add_u32 v0, v152, 4, v154
	v_mul_f64 v[13:14], v[66:67], v[150:151]
	v_mul_f64 v[15:16], v[64:65], v[150:151]
	;; [unrolled: 1-line block ×4, first 2 shown]
	v_fma_f64 v[13:14], v[64:65], v[148:149], -v[13:14]
	v_fma_f64 v[15:16], v[66:67], v[148:149], v[15:16]
	v_fma_f64 v[17:18], v[48:49], v[32:33], -v[17:18]
	v_fma_f64 v[64:65], v[50:51], v[32:33], v[80:81]
	v_mul_f64 v[82:83], v[54:55], v[42:43]
	v_mul_f64 v[84:85], v[52:53], v[42:43]
	;; [unrolled: 1-line block ×4, first 2 shown]
	v_add_f64 v[48:49], v[5:6], -v[13:14]
	v_add_f64 v[50:51], v[7:8], -v[15:16]
	v_mul_f64 v[90:91], v[78:79], v[46:47]
	v_mul_f64 v[92:93], v[76:77], v[46:47]
	v_fma_f64 v[66:67], v[52:53], v[40:41], -v[82:83]
	v_fma_f64 v[80:81], v[54:55], v[40:41], v[84:85]
	v_fma_f64 v[72:73], v[72:73], v[36:37], -v[86:87]
	v_fma_f64 v[74:75], v[74:75], v[36:37], v[88:89]
	v_add_f64 v[52:53], v[9:10], -v[17:18]
	v_add_f64 v[54:55], v[11:12], -v[64:65]
	v_fma_f64 v[76:77], v[76:77], v[44:45], -v[90:91]
	v_fma_f64 v[78:79], v[78:79], v[44:45], v[92:93]
	v_add_f64 v[64:65], v[56:57], -v[66:67]
	v_add_f64 v[66:67], v[58:59], -v[80:81]
	;; [unrolled: 1-line block ×4, first 2 shown]
	v_fma_f64 v[5:6], v[5:6], 2.0, -v[48:49]
	v_fma_f64 v[7:8], v[7:8], 2.0, -v[50:51]
	v_add_f64 v[76:77], v[68:69], -v[76:77]
	v_add_f64 v[78:79], v[70:71], -v[78:79]
	v_fma_f64 v[9:10], v[9:10], 2.0, -v[52:53]
	v_fma_f64 v[11:12], v[11:12], 2.0, -v[54:55]
	;; [unrolled: 1-line block ×8, first 2 shown]
	ds_write_b128 v157, v[48:51] offset:272
	ds_write_b128 v157, v[5:8]
	ds_write_b128 v156, v[9:12]
	ds_write_b128 v156, v[52:55] offset:272
	ds_write_b128 v155, v[56:59]
	ds_write_b128 v155, v[64:67] offset:272
	v_mov_b32_e32 v8, s3
	v_mov_b32_e32 v7, s2
	v_mad_u64_u32 v[7:8], s[0:1], v152, s0, v[7:8]
	ds_write_b128 v158, v[60:63]
	ds_write_b128 v158, v[72:75] offset:272
	ds_write_b128 v159, v[68:71]
	ds_write_b128 v159, v[76:79] offset:272
	s_waitcnt lgkmcnt(0)
	s_barrier
	global_load_dwordx4 v[64:67], v[7:8], off offset:272
	global_load_dwordx4 v[56:59], v[7:8], off offset:288
	global_load_dwordx4 v[52:55], v[7:8], off offset:304
	global_load_dwordx4 v[48:51], v[7:8], off offset:320
	global_load_dwordx4 v[76:79], v[7:8], off offset:336
	global_load_dwordx4 v[68:71], v[7:8], off offset:352
	global_load_dwordx4 v[60:63], v[7:8], off offset:368
	global_load_dwordx4 v[72:75], v[7:8], off offset:384
	global_load_dwordx4 v[80:83], v[7:8], off offset:400
	ds_read_b128 v[7:10], v1
	ds_read_b128 v[84:87], v1 offset:544
	ds_read_b128 v[88:91], v1 offset:1088
	;; [unrolled: 1-line block ×9, first 2 shown]
	s_mov_b32 s0, 0x134454ff
	s_mov_b32 s1, 0x3fee6f0e
	;; [unrolled: 1-line block ×6, first 2 shown]
	s_waitcnt vmcnt(8) lgkmcnt(8)
	v_mul_f64 v[11:12], v[86:87], v[66:67]
	s_waitcnt vmcnt(7) lgkmcnt(7)
	v_mul_f64 v[15:16], v[90:91], v[58:59]
	v_mul_f64 v[17:18], v[88:89], v[58:59]
	s_waitcnt vmcnt(5) lgkmcnt(5)
	v_mul_f64 v[124:125], v[98:99], v[50:51]
	;; [unrolled: 3-line block ×4, first 2 shown]
	v_mul_f64 v[120:121], v[94:95], v[54:55]
	v_mul_f64 v[128:129], v[102:103], v[78:79]
	;; [unrolled: 1-line block ×3, first 2 shown]
	v_fma_f64 v[15:16], v[88:89], v[56:57], -v[15:16]
	v_fma_f64 v[17:18], v[90:91], v[56:57], v[17:18]
	v_fma_f64 v[88:89], v[96:97], v[48:49], -v[124:125]
	v_fma_f64 v[90:91], v[98:99], v[48:49], v[126:127]
	;; [unrolled: 2-line block ×3, first 2 shown]
	v_fma_f64 v[106:107], v[112:113], v[72:73], -v[140:141]
	v_mul_f64 v[13:14], v[84:85], v[66:67]
	v_mul_f64 v[122:123], v[92:93], v[54:55]
	;; [unrolled: 1-line block ×5, first 2 shown]
	s_waitcnt vmcnt(0) lgkmcnt(0)
	v_mul_f64 v[144:145], v[118:119], v[82:83]
	v_mul_f64 v[146:147], v[116:117], v[82:83]
	v_fma_f64 v[11:12], v[84:85], v[64:65], -v[11:12]
	v_fma_f64 v[84:85], v[92:93], v[52:53], -v[120:121]
	;; [unrolled: 1-line block ×3, first 2 shown]
	v_fma_f64 v[100:101], v[114:115], v[72:73], v[142:143]
	v_add_f64 v[114:115], v[88:89], v[96:97]
	v_add_f64 v[124:125], v[15:16], v[106:107]
	v_fma_f64 v[13:14], v[86:87], v[64:65], v[13:14]
	v_fma_f64 v[86:87], v[94:95], v[52:53], v[122:123]
	;; [unrolled: 1-line block ×3, first 2 shown]
	v_fma_f64 v[102:103], v[108:109], v[60:61], -v[136:137]
	v_fma_f64 v[104:105], v[110:111], v[60:61], v[138:139]
	v_fma_f64 v[108:109], v[116:117], v[80:81], -v[144:145]
	v_fma_f64 v[110:111], v[118:119], v[80:81], v[146:147]
	v_add_f64 v[112:113], v[7:8], v[15:16]
	v_add_f64 v[116:117], v[17:18], -v[100:101]
	v_add_f64 v[118:119], v[90:91], -v[98:99]
	;; [unrolled: 1-line block ×6, first 2 shown]
	v_add_f64 v[130:131], v[9:10], v[17:18]
	v_fma_f64 v[114:115], v[114:115], -0.5, v[7:8]
	v_fma_f64 v[7:8], v[124:125], -0.5, v[7:8]
	v_add_f64 v[132:133], v[90:91], v[98:99]
	v_add_f64 v[134:135], v[88:89], -v[96:97]
	v_add_f64 v[140:141], v[17:18], v[100:101]
	v_add_f64 v[88:89], v[112:113], v[88:89]
	;; [unrolled: 1-line block ×5, first 2 shown]
	v_fma_f64 v[128:129], v[116:117], s[0:1], v[114:115]
	v_fma_f64 v[114:115], v[116:117], s[10:11], v[114:115]
	;; [unrolled: 1-line block ×4, first 2 shown]
	v_add_f64 v[15:16], v[15:16], -v[106:107]
	v_fma_f64 v[120:121], v[132:133], -0.5, v[9:10]
	v_fma_f64 v[9:10], v[140:141], -0.5, v[9:10]
	v_add_f64 v[88:89], v[88:89], v[96:97]
	v_add_f64 v[96:97], v[124:125], v[98:99]
	v_fma_f64 v[124:125], v[118:119], s[2:3], v[128:129]
	v_fma_f64 v[114:115], v[118:119], s[16:17], v[114:115]
	;; [unrolled: 1-line block ×4, first 2 shown]
	v_add_f64 v[136:137], v[17:18], -v[90:91]
	v_add_f64 v[138:139], v[100:101], -v[98:99]
	v_add_f64 v[142:143], v[92:93], v[102:103]
	v_fma_f64 v[132:133], v[15:16], s[10:11], v[120:121]
	v_fma_f64 v[120:121], v[15:16], s[0:1], v[120:121]
	v_add_f64 v[106:107], v[88:89], v[106:107]
	v_fma_f64 v[124:125], v[112:113], s[8:9], v[124:125]
	v_fma_f64 v[114:115], v[112:113], s[8:9], v[114:115]
	;; [unrolled: 1-line block ×4, first 2 shown]
	v_add_f64 v[88:89], v[11:12], v[84:85]
	v_fma_f64 v[122:123], v[134:135], s[0:1], v[9:10]
	v_add_f64 v[17:18], v[90:91], -v[17:18]
	v_add_f64 v[90:91], v[98:99], -v[100:101]
	v_fma_f64 v[9:10], v[134:135], s[10:11], v[9:10]
	v_add_f64 v[98:99], v[84:85], v[108:109]
	v_add_f64 v[126:127], v[136:137], v[138:139]
	v_fma_f64 v[116:117], v[134:135], s[16:17], v[132:133]
	v_add_f64 v[128:129], v[96:97], v[100:101]
	v_fma_f64 v[96:97], v[142:143], -0.5, v[11:12]
	v_fma_f64 v[120:121], v[134:135], s[2:3], v[120:121]
	v_add_f64 v[88:89], v[88:89], v[92:93]
	v_fma_f64 v[122:123], v[15:16], s[16:17], v[122:123]
	v_add_f64 v[17:18], v[17:18], v[90:91]
	v_fma_f64 v[11:12], v[98:99], -0.5, v[11:12]
	v_fma_f64 v[9:10], v[15:16], s[2:3], v[9:10]
	v_add_f64 v[98:99], v[94:95], v[104:105]
	v_fma_f64 v[118:119], v[126:127], s[8:9], v[116:117]
	v_add_f64 v[116:117], v[86:87], -v[110:111]
	v_add_f64 v[132:133], v[84:85], -v[92:93]
	;; [unrolled: 1-line block ×3, first 2 shown]
	v_fma_f64 v[126:127], v[126:127], s[8:9], v[120:121]
	v_add_f64 v[15:16], v[88:89], v[102:103]
	v_fma_f64 v[122:123], v[17:18], s[8:9], v[122:123]
	v_fma_f64 v[9:10], v[17:18], s[8:9], v[9:10]
	v_add_f64 v[17:18], v[86:87], v[110:111]
	v_fma_f64 v[98:99], v[98:99], -0.5, v[13:14]
	v_add_f64 v[120:121], v[84:85], -v[108:109]
	v_fma_f64 v[100:101], v[116:117], s[0:1], v[96:97]
	v_add_f64 v[130:131], v[94:95], -v[104:105]
	v_add_f64 v[90:91], v[132:133], v[134:135]
	v_fma_f64 v[96:97], v[116:117], s[10:11], v[96:97]
	v_add_f64 v[15:16], v[15:16], v[108:109]
	v_add_f64 v[132:133], v[13:14], v[86:87]
	v_add_f64 v[134:135], v[92:93], -v[102:103]
	v_fma_f64 v[13:14], v[17:18], -0.5, v[13:14]
	v_add_f64 v[17:18], v[92:93], -v[84:85]
	v_add_f64 v[84:85], v[102:103], -v[108:109]
	v_fma_f64 v[92:93], v[120:121], s[10:11], v[98:99]
	v_add_f64 v[102:103], v[86:87], -v[94:95]
	v_add_f64 v[108:109], v[110:111], -v[104:105]
	v_fma_f64 v[88:89], v[130:131], s[2:3], v[100:101]
	v_fma_f64 v[100:101], v[130:131], s[10:11], v[11:12]
	;; [unrolled: 1-line block ×4, first 2 shown]
	v_add_f64 v[130:131], v[132:133], v[94:95]
	v_fma_f64 v[132:133], v[134:135], s[0:1], v[13:14]
	v_add_f64 v[86:87], v[94:95], -v[86:87]
	v_add_f64 v[94:95], v[104:105], -v[110:111]
	v_fma_f64 v[92:93], v[134:135], s[16:17], v[92:93]
	v_fma_f64 v[98:99], v[120:121], s[0:1], v[98:99]
	v_add_f64 v[102:103], v[102:103], v[108:109]
	v_fma_f64 v[13:14], v[134:135], s[10:11], v[13:14]
	v_fma_f64 v[100:101], v[116:117], s[2:3], v[100:101]
	v_add_f64 v[17:18], v[17:18], v[84:85]
	;; [unrolled: 3-line block ×3, first 2 shown]
	v_add_f64 v[94:95], v[130:131], v[104:105]
	v_fma_f64 v[98:99], v[134:135], s[2:3], v[98:99]
	v_fma_f64 v[92:93], v[102:103], s[8:9], v[92:93]
	;; [unrolled: 1-line block ×8, first 2 shown]
	v_add_f64 v[110:111], v[94:95], v[110:111]
	v_fma_f64 v[94:95], v[102:103], s[8:9], v[98:99]
	v_mul_f64 v[98:99], v[92:93], s[2:3]
	v_fma_f64 v[13:14], v[86:87], s[8:9], v[13:14]
	v_mul_f64 v[102:103], v[90:91], s[18:19]
	v_mul_f64 v[104:105], v[96:97], s[10:11]
	;; [unrolled: 1-line block ×4, first 2 shown]
	v_add_f64 v[84:85], v[106:107], v[15:16]
	v_mul_f64 v[120:121], v[94:95], s[18:19]
	v_fma_f64 v[108:109], v[88:89], s[18:19], v[98:99]
	v_mul_f64 v[98:99], v[88:89], s[16:17]
	v_mul_f64 v[116:117], v[13:14], s[8:9]
	v_fma_f64 v[132:133], v[94:95], s[2:3], -v[102:103]
	v_fma_f64 v[13:14], v[13:14], s[0:1], -v[100:101]
	v_fma_f64 v[130:131], v[96:97], s[8:9], v[86:87]
	v_fma_f64 v[17:18], v[17:18], s[8:9], v[104:105]
	v_fma_f64 v[136:137], v[90:91], s[16:17], -v[120:121]
	v_add_f64 v[88:89], v[124:125], v[108:109]
	v_fma_f64 v[134:135], v[92:93], s[18:19], v[98:99]
	v_fma_f64 v[11:12], v[11:12], s[10:11], -v[116:117]
	v_add_f64 v[100:101], v[114:115], v[132:133]
	v_add_f64 v[96:97], v[7:8], v[13:14]
	;; [unrolled: 1-line block ×8, first 2 shown]
	v_add_f64 v[104:105], v[106:107], -v[15:16]
	v_add_f64 v[108:109], v[124:125], -v[108:109]
	;; [unrolled: 1-line block ×10, first 2 shown]
	ds_write_b128 v255, v[84:87]
	ds_write_b128 v0, v[88:91] offset:544
	ds_write_b128 v0, v[92:95] offset:1088
	;; [unrolled: 1-line block ×9, first 2 shown]
	s_waitcnt lgkmcnt(0)
	s_barrier
	s_and_saveexec_b64 s[2:3], vcc
	s_cbranch_execz .LBB0_9
; %bb.8:
	s_add_u32 s8, s12, 0x1540
	s_addc_u32 s9, s13, 0
	global_load_dwordx4 v[124:127], v153, s[8:9]
	ds_read_b128 v[10:13], v255
	v_add_co_u32_e64 v8, s[0:1], s8, v153
	v_mov_b32_e32 v2, s9
	v_addc_co_u32_e64 v9, s[0:1], 0, v2, s[0:1]
	s_movk_i32 s0, 0x1000
	v_or_b32_e32 v2, 0x1400, v153
	s_waitcnt vmcnt(0) lgkmcnt(0)
	v_mul_f64 v[14:15], v[12:13], v[126:127]
	v_fma_f64 v[128:129], v[10:11], v[124:125], -v[14:15]
	v_mul_f64 v[10:11], v[10:11], v[126:127]
	v_fma_f64 v[130:131], v[12:13], v[124:125], v[10:11]
	global_load_dwordx4 v[124:127], v153, s[8:9] offset:320
	ds_write_b128 v255, v[128:131]
	ds_read_b128 v[10:13], v0 offset:320
	s_waitcnt vmcnt(0) lgkmcnt(0)
	v_mul_f64 v[14:15], v[12:13], v[126:127]
	v_fma_f64 v[128:129], v[10:11], v[124:125], -v[14:15]
	v_mul_f64 v[10:11], v[10:11], v[126:127]
	v_fma_f64 v[130:131], v[12:13], v[124:125], v[10:11]
	global_load_dwordx4 v[124:127], v153, s[8:9] offset:640
	ds_read_b128 v[10:13], v0 offset:640
	ds_write_b128 v0, v[128:131] offset:320
	s_waitcnt vmcnt(0) lgkmcnt(1)
	v_mul_f64 v[14:15], v[12:13], v[126:127]
	v_fma_f64 v[128:129], v[10:11], v[124:125], -v[14:15]
	v_mul_f64 v[10:11], v[10:11], v[126:127]
	v_fma_f64 v[130:131], v[12:13], v[124:125], v[10:11]
	global_load_dwordx4 v[124:127], v153, s[8:9] offset:960
	ds_read_b128 v[10:13], v0 offset:960
	ds_write_b128 v0, v[128:131] offset:640
	;; [unrolled: 8-line block ×11, first 2 shown]
	s_waitcnt vmcnt(0) lgkmcnt(1)
	v_mul_f64 v[14:15], v[12:13], v[126:127]
	v_fma_f64 v[128:129], v[10:11], v[124:125], -v[14:15]
	v_mul_f64 v[10:11], v[10:11], v[126:127]
	v_add_co_u32_e64 v14, s[0:1], s0, v8
	v_addc_co_u32_e64 v15, s[0:1], 0, v9, s[0:1]
	v_fma_f64 v[130:131], v[12:13], v[124:125], v[10:11]
	global_load_dwordx4 v[124:127], v[14:15], off offset:64
	ds_read_b128 v[10:13], v0 offset:4160
	ds_write_b128 v0, v[128:131] offset:3840
	s_waitcnt vmcnt(0) lgkmcnt(1)
	v_mul_f64 v[8:9], v[12:13], v[126:127]
	v_fma_f64 v[8:9], v[10:11], v[124:125], -v[8:9]
	v_mul_f64 v[10:11], v[10:11], v[126:127]
	v_fma_f64 v[10:11], v[12:13], v[124:125], v[10:11]
	global_load_dwordx4 v[124:127], v[14:15], off offset:384
	ds_write_b128 v0, v[8:11] offset:4160
	ds_read_b128 v[8:11], v0 offset:4480
	s_waitcnt vmcnt(0) lgkmcnt(0)
	v_mul_f64 v[12:13], v[10:11], v[126:127]
	v_fma_f64 v[128:129], v[8:9], v[124:125], -v[12:13]
	v_mul_f64 v[8:9], v[8:9], v[126:127]
	v_fma_f64 v[130:131], v[10:11], v[124:125], v[8:9]
	global_load_dwordx4 v[124:127], v[14:15], off offset:704
	ds_read_b128 v[8:11], v0 offset:4800
	ds_write_b128 v0, v[128:131] offset:4480
	s_waitcnt vmcnt(0) lgkmcnt(1)
	v_mul_f64 v[12:13], v[10:11], v[126:127]
	v_fma_f64 v[128:129], v[8:9], v[124:125], -v[12:13]
	v_mul_f64 v[8:9], v[8:9], v[126:127]
	v_fma_f64 v[130:131], v[10:11], v[124:125], v[8:9]
	global_load_dwordx4 v[124:127], v2, s[8:9]
	ds_read_b128 v[8:11], v0 offset:5120
	ds_write_b128 v0, v[128:131] offset:4800
	s_waitcnt vmcnt(0) lgkmcnt(1)
	v_mul_f64 v[12:13], v[10:11], v[126:127]
	v_fma_f64 v[128:129], v[8:9], v[124:125], -v[12:13]
	v_mul_f64 v[8:9], v[8:9], v[126:127]
	v_fma_f64 v[130:131], v[10:11], v[124:125], v[8:9]
	ds_write_b128 v0, v[128:131] offset:5120
.LBB0_9:
	s_or_b64 exec, exec, s[2:3]
	s_waitcnt lgkmcnt(0)
	s_barrier
	s_and_saveexec_b64 s[0:1], vcc
	s_cbranch_execz .LBB0_11
; %bb.10:
	ds_read_b128 v[84:87], v255
	ds_read_b128 v[88:91], v255 offset:320
	ds_read_b128 v[92:95], v255 offset:640
	;; [unrolled: 1-line block ×10, first 2 shown]
	s_waitcnt lgkmcnt(0)
	buffer_store_dword v2, off, s[64:67], 0 offset:96 ; 4-byte Folded Spill
	s_nop 0
	buffer_store_dword v3, off, s[64:67], 0 offset:100 ; 4-byte Folded Spill
	buffer_store_dword v4, off, s[64:67], 0 offset:104 ; 4-byte Folded Spill
	buffer_store_dword v5, off, s[64:67], 0 offset:108 ; 4-byte Folded Spill
	ds_read_b128 v[2:5], v255 offset:3520
	s_waitcnt lgkmcnt(0)
	buffer_store_dword v2, off, s[64:67], 0 offset:80 ; 4-byte Folded Spill
	s_nop 0
	buffer_store_dword v3, off, s[64:67], 0 offset:84 ; 4-byte Folded Spill
	buffer_store_dword v4, off, s[64:67], 0 offset:88 ; 4-byte Folded Spill
	buffer_store_dword v5, off, s[64:67], 0 offset:92 ; 4-byte Folded Spill
	ds_read_b128 v[2:5], v255 offset:3840
	;; [unrolled: 7-line block ×6, first 2 shown]
	s_waitcnt lgkmcnt(0)
	buffer_store_dword v2, off, s[64:67], 0 ; 4-byte Folded Spill
	s_nop 0
	buffer_store_dword v3, off, s[64:67], 0 offset:4 ; 4-byte Folded Spill
	buffer_store_dword v4, off, s[64:67], 0 offset:8 ; 4-byte Folded Spill
	;; [unrolled: 1-line block ×3, first 2 shown]
.LBB0_11:
	s_or_b64 exec, exec, s[0:1]
	s_waitcnt vmcnt(0)
	s_barrier
	s_and_saveexec_b64 s[0:1], vcc
	s_cbranch_execz .LBB0_13
; %bb.12:
	buffer_load_dword v24, off, s[64:67], 0 offset:96 ; 4-byte Folded Reload
	buffer_load_dword v25, off, s[64:67], 0 offset:100 ; 4-byte Folded Reload
	;; [unrolled: 1-line block ×4, first 2 shown]
	buffer_load_dword v28, off, s[64:67], 0 ; 4-byte Folded Reload
	buffer_load_dword v29, off, s[64:67], 0 offset:4 ; 4-byte Folded Reload
	buffer_load_dword v30, off, s[64:67], 0 offset:8 ; 4-byte Folded Reload
	;; [unrolled: 1-line block ×3, first 2 shown]
	s_nop 0
	buffer_store_dword v32, off, s[64:67], 0 offset:128 ; 4-byte Folded Spill
	s_nop 0
	buffer_store_dword v33, off, s[64:67], 0 offset:132 ; 4-byte Folded Spill
	buffer_store_dword v34, off, s[64:67], 0 offset:136 ; 4-byte Folded Spill
	;; [unrolled: 1-line block ×3, first 2 shown]
	buffer_load_dword v32, off, s[64:67], 0 offset:80 ; 4-byte Folded Reload
	s_nop 0
	buffer_load_dword v33, off, s[64:67], 0 offset:84 ; 4-byte Folded Reload
	buffer_load_dword v34, off, s[64:67], 0 offset:88 ; 4-byte Folded Reload
	;; [unrolled: 1-line block ×19, first 2 shown]
	s_mov_b32 s18, 0xacd6c6b4
	s_mov_b32 s19, 0xbfc7851a
	;; [unrolled: 1-line block ×26, first 2 shown]
	v_add_f64 v[209:210], v[118:119], -v[122:123]
	s_mov_b32 s50, 0xeb564b22
	s_mov_b32 s30, 0xc61f0d01
	v_add_f64 v[2:3], v[116:117], -v[120:121]
	s_mov_b32 s51, 0x3fefdd0d
	s_mov_b32 s31, 0xbfd183b1
	v_add_f64 v[207:208], v[116:117], v[120:121]
	s_mov_b32 s2, 0x3259b75e
	v_add_f64 v[161:162], v[118:119], v[122:123]
	s_mov_b32 s3, 0x3fb79ee6
	s_mov_b32 s41, 0xbfefdd0d
	v_mul_f64 v[8:9], v[2:3], s[50:51]
	s_mov_b32 s40, s50
	s_mov_b32 s55, 0x3fe9895b
	;; [unrolled: 1-line block ×13, first 2 shown]
	s_waitcnt vmcnt(30)
	v_add_f64 v[4:5], v[112:113], -v[24:25]
	s_waitcnt vmcnt(26)
	v_add_f64 v[223:224], v[88:89], -v[28:29]
	s_waitcnt vmcnt(24)
	v_add_f64 v[177:178], v[90:91], v[30:31]
	s_waitcnt vmcnt(18)
	v_add_f64 v[6:7], v[108:109], -v[32:33]
	s_waitcnt vmcnt(14)
	v_add_f64 v[20:21], v[104:105], -v[203:204]
	;; [unrolled: 2-line block ×5, first 2 shown]
	v_add_f64 v[173:174], v[94:95], v[165:166]
	v_mul_f64 v[12:13], v[223:224], s[18:19]
	s_waitcnt vmcnt(0)
	v_add_f64 v[175:176], v[98:99], v[185:186]
	v_add_f64 v[171:172], v[102:103], v[197:198]
	;; [unrolled: 1-line block ×3, first 2 shown]
	v_mul_f64 v[126:127], v[22:23], s[46:47]
	v_mul_f64 v[14:15], v[221:222], s[38:39]
	;; [unrolled: 1-line block ×3, first 2 shown]
	v_mov_b32_e32 v232, v23
	v_fma_f64 v[16:17], v[177:178], s[10:11], v[12:13]
	v_mov_b32_e32 v231, v22
	v_add_f64 v[22:23], v[90:91], -v[30:31]
	v_mov_b32_e32 v252, v21
	v_fma_f64 v[130:131], v[171:172], s[22:23], v[126:127]
	v_fma_f64 v[124:125], v[173:174], s[20:21], v[14:15]
	;; [unrolled: 1-line block ×3, first 2 shown]
	v_mov_b32_e32 v251, v20
	v_add_f64 v[16:17], v[86:87], v[16:17]
	v_add_f64 v[167:168], v[110:111], v[34:35]
	;; [unrolled: 1-line block ×3, first 2 shown]
	v_mov_b32_e32 v238, v23
	v_mov_b32_e32 v237, v22
	v_add_f64 v[191:192], v[92:93], v[163:164]
	v_add_f64 v[179:180], v[102:103], -v[197:198]
	v_add_f64 v[189:190], v[96:97], v[183:184]
	v_add_f64 v[16:17], v[124:125], v[16:17]
	v_mul_f64 v[124:125], v[20:21], s[28:29]
	v_add_f64 v[20:21], v[94:95], -v[165:166]
	v_add_f64 v[199:200], v[106:107], -v[205:206]
	v_fma_f64 v[12:13], v[177:178], s[10:11], -v[12:13]
	v_add_f64 v[201:202], v[100:101], v[195:196]
	v_mul_f64 v[142:143], v[179:180], s[46:47]
	v_add_f64 v[219:220], v[110:111], -v[34:35]
	v_add_f64 v[16:17], v[128:129], v[16:17]
	v_mul_f64 v[128:129], v[6:7], s[42:43]
	v_fma_f64 v[132:133], v[169:170], s[26:27], v[124:125]
	v_fma_f64 v[14:15], v[173:174], s[20:21], -v[14:15]
	v_add_f64 v[12:13], v[86:87], v[12:13]
	v_add_f64 v[217:218], v[104:105], v[203:204]
	v_fma_f64 v[146:147], v[201:202], s[22:23], -v[142:143]
	v_add_f64 v[213:214], v[114:115], -v[26:27]
	v_add_f64 v[16:17], v[130:131], v[16:17]
	v_mul_f64 v[130:131], v[22:23], s[18:19]
	v_fma_f64 v[134:135], v[167:168], s[34:35], v[128:129]
	v_add_f64 v[22:23], v[98:99], -v[185:186]
	v_fma_f64 v[18:19], v[175:176], s[16:17], -v[18:19]
	v_add_f64 v[12:13], v[14:15], v[12:13]
	v_add_f64 v[215:216], v[108:109], v[32:33]
	v_mul_f64 v[14:15], v[219:220], s[42:43]
	v_add_f64 v[16:17], v[132:133], v[16:17]
	v_mul_f64 v[132:133], v[20:21], s[38:39]
	v_fma_f64 v[136:137], v[193:194], s[10:11], -v[130:131]
	v_fma_f64 v[130:131], v[193:194], s[10:11], v[130:131]
	v_mul_f64 v[10:11], v[4:5], s[8:9]
	v_add_f64 v[181:182], v[114:115], v[26:27]
	v_fma_f64 v[126:127], v[171:172], s[22:23], -v[126:127]
	v_add_f64 v[12:13], v[18:19], v[12:13]
	v_add_f64 v[16:17], v[134:135], v[16:17]
	v_mul_f64 v[134:135], v[22:23], s[24:25]
	v_fma_f64 v[140:141], v[191:192], s[20:21], -v[132:133]
	v_add_f64 v[136:137], v[84:85], v[136:137]
	v_fma_f64 v[132:133], v[191:192], s[20:21], v[132:133]
	v_add_f64 v[130:131], v[84:85], v[130:131]
	v_add_f64 v[211:212], v[112:113], v[24:25]
	v_mul_f64 v[18:19], v[213:214], s[8:9]
	v_fma_f64 v[138:139], v[181:182], s[30:31], v[10:11]
	v_fma_f64 v[144:145], v[189:190], s[16:17], -v[134:135]
	v_fma_f64 v[134:135], v[189:190], s[16:17], v[134:135]
	v_add_f64 v[136:137], v[140:141], v[136:137]
	v_mul_f64 v[140:141], v[199:200], s[28:29]
	v_add_f64 v[130:131], v[132:133], v[130:131]
	v_fma_f64 v[132:133], v[215:216], s[34:35], -v[14:15]
	v_add_f64 v[12:13], v[126:127], v[12:13]
	v_fma_f64 v[126:127], v[211:212], s[30:31], -v[18:19]
	v_fma_f64 v[124:125], v[169:170], s[26:27], -v[124:125]
	v_add_f64 v[16:17], v[138:139], v[16:17]
	v_add_f64 v[136:137], v[144:145], v[136:137]
	v_fma_f64 v[144:145], v[217:218], s[26:27], -v[140:141]
	v_add_f64 v[130:131], v[134:135], v[130:131]
	v_mul_f64 v[134:135], v[209:210], s[50:51]
	v_mov_b32_e32 v240, v21
	v_mov_b32_e32 v239, v20
	v_add_f64 v[12:13], v[124:125], v[12:13]
	v_fma_f64 v[124:125], v[161:162], s[2:3], v[8:9]
	v_add_f64 v[136:137], v[146:147], v[136:137]
	v_fma_f64 v[142:143], v[201:202], s[22:23], v[142:143]
	v_mov_b32_e32 v234, v23
	v_fma_f64 v[138:139], v[207:208], s[2:3], -v[134:135]
	v_mov_b32_e32 v233, v22
	v_fma_f64 v[128:129], v[167:168], s[34:35], -v[128:129]
	v_mul_f64 v[146:147], v[231:232], s[54:55]
	v_add_f64 v[22:23], v[124:125], v[16:17]
	v_add_f64 v[136:137], v[144:145], v[136:137]
	;; [unrolled: 1-line block ×3, first 2 shown]
	v_mul_f64 v[142:143], v[221:222], s[42:43]
	v_fma_f64 v[14:15], v[215:216], s[34:35], v[14:15]
	v_fma_f64 v[10:11], v[181:182], s[30:31], -v[10:11]
	v_add_f64 v[12:13], v[128:129], v[12:13]
	v_mul_f64 v[128:129], v[251:252], s[36:37]
	v_fma_f64 v[225:226], v[171:172], s[26:27], v[146:147]
	v_add_f64 v[132:133], v[132:133], v[136:137]
	v_fma_f64 v[136:137], v[217:218], s[26:27], v[140:141]
	v_fma_f64 v[16:17], v[211:212], s[30:31], v[18:19]
	v_mul_f64 v[18:19], v[6:7], s[18:19]
	v_fma_f64 v[146:147], v[171:172], s[26:27], -v[146:147]
	v_add_f64 v[10:11], v[10:11], v[12:13]
	v_fma_f64 v[140:141], v[169:170], s[20:21], v[128:129]
	v_mul_f64 v[12:13], v[4:5], s[46:47]
	v_add_f64 v[132:133], v[126:127], v[132:133]
	v_add_f64 v[130:131], v[136:137], v[130:131]
	v_fma_f64 v[128:129], v[169:170], s[20:21], -v[128:129]
	v_fma_f64 v[136:137], v[167:168], s[10:11], v[18:19]
	v_fma_f64 v[8:9], v[161:162], s[2:3], -v[8:9]
	v_fma_f64 v[18:19], v[167:168], s[10:11], -v[18:19]
	v_mul_f64 v[245:246], v[219:220], s[24:25]
	v_mul_f64 v[247:248], v[213:214], s[54:55]
	v_add_f64 v[20:21], v[138:139], v[132:133]
	v_mul_f64 v[132:133], v[223:224], s[24:25]
	v_mul_f64 v[138:139], v[237:238], s[24:25]
	v_add_f64 v[14:15], v[14:15], v[130:131]
	buffer_store_dword v20, off, s[64:67], 0 offset:200 ; 4-byte Folded Spill
	s_nop 0
	buffer_store_dword v21, off, s[64:67], 0 offset:204 ; 4-byte Folded Spill
	buffer_store_dword v22, off, s[64:67], 0 offset:208 ; 4-byte Folded Spill
	;; [unrolled: 1-line block ×3, first 2 shown]
	v_fma_f64 v[144:145], v[177:178], s[16:17], v[132:133]
	buffer_store_dword v148, off, s[64:67], 0 offset:144 ; 4-byte Folded Spill
	s_nop 0
	buffer_store_dword v149, off, s[64:67], 0 offset:148 ; 4-byte Folded Spill
	buffer_store_dword v150, off, s[64:67], 0 offset:152 ; 4-byte Folded Spill
	;; [unrolled: 1-line block ×3, first 2 shown]
	v_mul_f64 v[148:149], v[239:240], s[42:43]
	v_fma_f64 v[150:151], v[193:194], s[16:17], -v[138:139]
	buffer_store_dword v153, off, s[64:67], 0 offset:120 ; 4-byte Folded Spill
	v_mul_f64 v[152:153], v[187:188], s[40:41]
	buffer_store_dword v154, off, s[64:67], 0 offset:216 ; 4-byte Folded Spill
	buffer_store_dword v155, off, s[64:67], 0 offset:160 ; 4-byte Folded Spill
	v_fma_f64 v[154:155], v[173:174], s[34:35], v[142:143]
	v_add_f64 v[144:145], v[86:87], v[144:145]
	v_fma_f64 v[132:133], v[177:178], s[16:17], -v[132:133]
	v_fma_f64 v[138:139], v[193:194], s[16:17], v[138:139]
	buffer_store_dword v156, off, s[64:67], 0 offset:168 ; 4-byte Folded Spill
	buffer_store_dword v157, off, s[64:67], 0 offset:176 ; 4-byte Folded Spill
	v_mul_f64 v[156:157], v[233:234], s[40:41]
	buffer_store_dword v158, off, s[64:67], 0 offset:184 ; 4-byte Folded Spill
	buffer_store_dword v159, off, s[64:67], 0 offset:192 ; 4-byte Folded Spill
	v_fma_f64 v[158:159], v[191:192], s[34:35], -v[148:149]
	v_add_f64 v[150:151], v[84:85], v[150:151]
	v_fma_f64 v[227:228], v[175:176], s[2:3], v[152:153]
	v_add_f64 v[144:145], v[154:155], v[144:145]
	v_fma_f64 v[142:143], v[173:174], s[34:35], -v[142:143]
	v_add_f64 v[132:133], v[86:87], v[132:133]
	v_fma_f64 v[148:149], v[191:192], s[34:35], v[148:149]
	v_add_f64 v[138:139], v[84:85], v[138:139]
	v_mul_f64 v[154:155], v[179:180], s[54:55]
	v_fma_f64 v[229:230], v[189:190], s[2:3], -v[156:157]
	v_add_f64 v[150:151], v[158:159], v[150:151]
	v_add_f64 v[144:145], v[227:228], v[144:145]
	v_fma_f64 v[152:153], v[175:176], s[2:3], -v[152:153]
	v_add_f64 v[132:133], v[142:143], v[132:133]
	v_fma_f64 v[142:143], v[189:190], s[2:3], v[156:157]
	v_add_f64 v[138:139], v[148:149], v[138:139]
	v_mul_f64 v[158:159], v[199:200], s[36:37]
	v_fma_f64 v[227:228], v[201:202], s[26:27], -v[154:155]
	v_add_f64 v[150:151], v[229:230], v[150:151]
	v_add_f64 v[144:145], v[225:226], v[144:145]
	v_mul_f64 v[148:149], v[219:220], s[18:19]
	v_add_f64 v[132:133], v[152:153], v[132:133]
	v_fma_f64 v[152:153], v[201:202], s[26:27], v[154:155]
	v_add_f64 v[138:139], v[142:143], v[138:139]
	v_fma_f64 v[156:157], v[217:218], s[20:21], -v[158:159]
	v_fma_f64 v[130:131], v[207:208], s[2:3], v[134:135]
	v_add_f64 v[150:151], v[227:228], v[150:151]
	v_add_f64 v[140:141], v[140:141], v[144:145]
	;; [unrolled: 1-line block ×4, first 2 shown]
	v_fma_f64 v[146:147], v[217:218], s[20:21], v[158:159]
	v_add_f64 v[138:139], v[152:153], v[138:139]
	v_mul_f64 v[16:17], v[2:3], s[8:9]
	v_fma_f64 v[134:135], v[181:182], s[22:23], v[12:13]
	v_mul_f64 v[142:143], v[213:214], s[46:47]
	v_fma_f64 v[144:145], v[215:216], s[10:11], -v[148:149]
	v_add_f64 v[150:151], v[156:157], v[150:151]
	v_add_f64 v[136:137], v[136:137], v[140:141]
	;; [unrolled: 1-line block ×3, first 2 shown]
	v_fma_f64 v[132:133], v[215:216], s[10:11], v[148:149]
	v_add_f64 v[138:139], v[146:147], v[138:139]
	v_add_f64 v[10:11], v[8:9], v[10:11]
	;; [unrolled: 1-line block ×3, first 2 shown]
	v_mul_f64 v[140:141], v[209:210], s[8:9]
	v_fma_f64 v[152:153], v[211:212], s[22:23], -v[142:143]
	v_add_f64 v[144:145], v[144:145], v[150:151]
	v_fma_f64 v[146:147], v[161:162], s[30:31], v[16:17]
	v_add_f64 v[136:137], v[134:135], v[136:137]
	v_fma_f64 v[142:143], v[211:212], s[22:23], v[142:143]
	v_add_f64 v[138:139], v[132:133], v[138:139]
	buffer_store_dword v8, off, s[64:67], 0 offset:240 ; 4-byte Folded Spill
	s_nop 0
	buffer_store_dword v9, off, s[64:67], 0 offset:244 ; 4-byte Folded Spill
	buffer_store_dword v10, off, s[64:67], 0 offset:248 ; 4-byte Folded Spill
	;; [unrolled: 1-line block ×3, first 2 shown]
	v_fma_f64 v[148:149], v[207:208], s[30:31], -v[140:141]
	v_mov_b32_e32 v20, v233
	v_add_f64 v[144:145], v[152:153], v[144:145]
	v_mul_f64 v[152:153], v[239:240], s[52:53]
	v_add_f64 v[10:11], v[146:147], v[136:137]
	v_mul_f64 v[136:137], v[223:224], s[28:29]
	;; [unrolled: 2-line block ×3, first 2 shown]
	v_mov_b32_e32 v21, v234
	v_mul_f64 v[158:159], v[187:188], s[36:37]
	v_add_f64 v[8:9], v[148:149], v[144:145]
	v_mul_f64 v[144:145], v[221:222], s[52:53]
	v_mul_f64 v[227:228], v[20:21], s[36:37]
	v_fma_f64 v[148:149], v[177:178], s[26:27], v[136:137]
	v_fma_f64 v[136:137], v[177:178], s[26:27], -v[136:137]
	v_fma_f64 v[154:155], v[193:194], s[26:27], -v[142:143]
	;; [unrolled: 1-line block ×3, first 2 shown]
	buffer_store_dword v8, off, s[64:67], 0 offset:224 ; 4-byte Folded Spill
	s_nop 0
	buffer_store_dword v9, off, s[64:67], 0 offset:228 ; 4-byte Folded Spill
	buffer_store_dword v10, off, s[64:67], 0 offset:232 ; 4-byte Folded Spill
	;; [unrolled: 1-line block ×3, first 2 shown]
	v_fma_f64 v[225:226], v[173:174], s[30:31], v[144:145]
	v_mov_b32_e32 v23, v3
	v_add_f64 v[148:149], v[86:87], v[148:149]
	v_fma_f64 v[8:9], v[161:162], s[30:31], -v[16:17]
	v_add_f64 v[154:155], v[84:85], v[154:155]
	v_mul_f64 v[16:17], v[2:3], s[42:43]
	v_mov_b32_e32 v22, v2
	v_mov_b32_e32 v2, v231
	;; [unrolled: 1-line block ×3, first 2 shown]
	v_fma_f64 v[12:13], v[181:182], s[22:23], -v[12:13]
	v_add_f64 v[18:19], v[18:19], v[128:129]
	v_mul_f64 v[231:232], v[2:3], s[24:25]
	v_fma_f64 v[233:234], v[175:176], s[20:21], v[158:159]
	v_fma_f64 v[144:145], v[173:174], s[30:31], -v[144:145]
	v_add_f64 v[136:137], v[86:87], v[136:137]
	v_add_f64 v[148:149], v[225:226], v[148:149]
	v_mul_f64 v[225:226], v[179:180], s[24:25]
	v_fma_f64 v[235:236], v[189:190], s[20:21], -v[227:228]
	v_add_f64 v[154:155], v[229:230], v[154:155]
	v_add_f64 v[10:11], v[12:13], v[18:19]
	v_fma_f64 v[12:13], v[207:208], s[30:31], v[140:141]
	v_mul_f64 v[140:141], v[251:252], s[50:51]
	v_fma_f64 v[229:230], v[171:172], s[16:17], v[231:232]
	v_fma_f64 v[158:159], v[175:176], s[20:21], -v[158:159]
	v_fma_f64 v[142:143], v[193:194], s[26:27], v[142:143]
	v_add_f64 v[136:137], v[144:145], v[136:137]
	v_add_f64 v[144:145], v[233:234], v[148:149]
	v_mul_f64 v[148:149], v[199:200], s[50:51]
	v_fma_f64 v[233:234], v[201:202], s[16:17], -v[225:226]
	v_add_f64 v[154:155], v[235:236], v[154:155]
	v_mul_f64 v[138:139], v[6:7], s[44:45]
	v_fma_f64 v[156:157], v[169:170], s[2:3], v[140:141]
	v_fma_f64 v[231:232], v[171:172], s[16:17], -v[231:232]
	v_fma_f64 v[152:153], v[191:192], s[30:31], v[152:153]
	v_add_f64 v[142:143], v[84:85], v[142:143]
	v_add_f64 v[136:137], v[158:159], v[136:137]
	v_add_f64 v[144:145], v[229:230], v[144:145]
	v_mul_f64 v[158:159], v[219:220], s[44:45]
	v_fma_f64 v[229:230], v[217:218], s[2:3], -v[148:149]
	v_add_f64 v[154:155], v[233:234], v[154:155]
	v_mul_f64 v[18:19], v[4:5], s[18:19]
	v_fma_f64 v[150:151], v[167:168], s[22:23], v[138:139]
	v_fma_f64 v[140:141], v[169:170], s[2:3], -v[140:141]
	v_add_f64 v[142:143], v[152:153], v[142:143]
	v_add_f64 v[136:137], v[231:232], v[136:137]
	;; [unrolled: 1-line block ×3, first 2 shown]
	v_mul_f64 v[152:153], v[213:214], s[18:19]
	v_fma_f64 v[156:157], v[215:216], s[22:23], -v[158:159]
	v_add_f64 v[154:155], v[229:230], v[154:155]
	v_fma_f64 v[146:147], v[181:182], s[10:11], v[18:19]
	v_fma_f64 v[138:139], v[167:168], s[22:23], -v[138:139]
	v_add_f64 v[10:11], v[8:9], v[10:11]
	v_add_f64 v[136:137], v[140:141], v[136:137]
	;; [unrolled: 1-line block ×3, first 2 shown]
	v_mul_f64 v[144:145], v[209:210], s[42:43]
	v_fma_f64 v[150:151], v[211:212], s[10:11], -v[152:153]
	v_add_f64 v[154:155], v[156:157], v[154:155]
	v_add_f64 v[8:9], v[12:13], v[14:15]
	v_fma_f64 v[227:228], v[189:190], s[20:21], v[227:228]
	buffer_store_dword v8, off, s[64:67], 0 offset:272 ; 4-byte Folded Spill
	s_nop 0
	buffer_store_dword v9, off, s[64:67], 0 offset:276 ; 4-byte Folded Spill
	buffer_store_dword v10, off, s[64:67], 0 offset:280 ; 4-byte Folded Spill
	;; [unrolled: 1-line block ×3, first 2 shown]
	v_add_f64 v[136:137], v[138:139], v[136:137]
	v_fma_f64 v[138:139], v[161:162], s[34:35], v[16:17]
	v_add_f64 v[146:147], v[146:147], v[140:141]
	v_fma_f64 v[156:157], v[207:208], s[34:35], -v[144:145]
	v_add_f64 v[150:151], v[150:151], v[154:155]
	v_fma_f64 v[225:226], v[201:202], s[16:17], v[225:226]
	v_add_f64 v[142:143], v[227:228], v[142:143]
	v_fma_f64 v[18:19], v[181:182], s[10:11], -v[18:19]
	v_fma_f64 v[148:149], v[217:218], s[2:3], v[148:149]
	v_fma_f64 v[16:17], v[161:162], s[34:35], -v[16:17]
	v_add_f64 v[10:11], v[138:139], v[146:147]
	v_mov_b32_e32 v140, v237
	v_add_f64 v[8:9], v[156:157], v[150:151]
	buffer_store_dword v8, off, s[64:67], 0 offset:256 ; 4-byte Folded Spill
	s_nop 0
	buffer_store_dword v9, off, s[64:67], 0 offset:260 ; 4-byte Folded Spill
	buffer_store_dword v10, off, s[64:67], 0 offset:264 ; 4-byte Folded Spill
	;; [unrolled: 1-line block ×3, first 2 shown]
	v_add_f64 v[142:143], v[225:226], v[142:143]
	v_add_f64 v[18:19], v[18:19], v[136:137]
	v_mul_f64 v[10:11], v[223:224], s[8:9]
	v_mov_b32_e32 v141, v238
	v_fma_f64 v[154:155], v[215:216], s[22:23], v[158:159]
	v_mul_f64 v[14:15], v[221:222], s[56:57]
	v_fma_f64 v[8:9], v[211:212], s[10:11], v[152:153]
	v_mul_f64 v[150:151], v[187:188], s[46:47]
	v_add_f64 v[148:149], v[148:149], v[142:143]
	v_add_f64 v[126:127], v[16:17], v[18:19]
	v_fma_f64 v[16:17], v[207:208], s[34:35], v[144:145]
	v_mul_f64 v[18:19], v[140:141], s[8:9]
	v_fma_f64 v[144:145], v[177:178], s[30:31], v[10:11]
	v_mov_b32_e32 v142, v239
	v_mov_b32_e32 v143, v240
	v_fma_f64 v[152:153], v[173:174], s[16:17], v[14:15]
	v_add_f64 v[12:13], v[154:155], v[148:149]
	v_mul_f64 v[154:155], v[142:143], s[56:57]
	v_mul_f64 v[158:159], v[2:3], s[48:49]
	v_fma_f64 v[156:157], v[193:194], s[30:31], -v[18:19]
	v_add_f64 v[144:145], v[86:87], v[144:145]
	v_fma_f64 v[225:226], v[175:176], s[22:23], v[150:151]
	v_mul_f64 v[227:228], v[20:21], s[46:47]
	v_fma_f64 v[10:11], v[177:178], s[30:31], -v[10:11]
	v_mul_f64 v[231:232], v[251:252], s[18:19]
	v_fma_f64 v[229:230], v[191:192], s[16:17], -v[154:155]
	v_fma_f64 v[233:234], v[171:172], s[34:35], v[158:159]
	v_add_f64 v[156:157], v[84:85], v[156:157]
	v_add_f64 v[144:145], v[152:153], v[144:145]
	v_mul_f64 v[235:236], v[179:180], s[48:49]
	v_fma_f64 v[237:238], v[189:190], s[22:23], -v[227:228]
	v_fma_f64 v[14:15], v[173:174], s[16:17], -v[14:15]
	v_add_f64 v[10:11], v[86:87], v[10:11]
	v_mul_f64 v[239:240], v[199:200], s[18:19]
	v_fma_f64 v[150:151], v[175:176], s[22:23], -v[150:151]
	v_add_f64 v[156:157], v[229:230], v[156:157]
	v_add_f64 v[144:145], v[225:226], v[144:145]
	v_mul_f64 v[225:226], v[6:7], s[50:51]
	v_fma_f64 v[229:230], v[169:170], s[10:11], v[231:232]
	v_fma_f64 v[241:242], v[201:202], s[34:35], -v[235:236]
	v_fma_f64 v[18:19], v[193:194], s[30:31], v[18:19]
	v_add_f64 v[10:11], v[14:15], v[10:11]
	v_mul_f64 v[148:149], v[4:5], s[36:37]
	v_add_f64 v[156:157], v[237:238], v[156:157]
	v_add_f64 v[144:145], v[233:234], v[144:145]
	v_fma_f64 v[233:234], v[167:168], s[2:3], v[225:226]
	v_mul_f64 v[237:238], v[219:220], s[50:51]
	v_fma_f64 v[243:244], v[217:218], s[10:11], -v[239:240]
	v_fma_f64 v[158:159], v[171:172], s[34:35], -v[158:159]
	v_fma_f64 v[154:155], v[191:192], s[16:17], v[154:155]
	v_add_f64 v[18:19], v[84:85], v[18:19]
	v_add_f64 v[14:15], v[241:242], v[156:157]
	;; [unrolled: 1-line block ×5, first 2 shown]
	v_mul_f64 v[12:13], v[22:23], s[28:29]
	v_fma_f64 v[152:153], v[181:182], s[20:21], v[148:149]
	v_mul_f64 v[156:157], v[213:214], s[36:37]
	v_fma_f64 v[229:230], v[215:216], s[2:3], -v[237:238]
	v_add_f64 v[14:15], v[243:244], v[14:15]
	v_add_f64 v[144:145], v[233:234], v[144:145]
	v_fma_f64 v[231:232], v[169:170], s[10:11], -v[231:232]
	v_fma_f64 v[227:228], v[189:190], s[22:23], v[227:228]
	v_add_f64 v[18:19], v[154:155], v[18:19]
	v_add_f64 v[10:11], v[158:159], v[10:11]
	v_mul_f64 v[233:234], v[209:210], s[28:29]
	v_fma_f64 v[150:151], v[211:212], s[20:21], -v[156:157]
	v_add_f64 v[14:15], v[229:230], v[14:15]
	v_fma_f64 v[154:155], v[161:162], s[26:27], v[12:13]
	v_add_f64 v[152:153], v[152:153], v[144:145]
	v_fma_f64 v[225:226], v[167:168], s[2:3], -v[225:226]
	v_fma_f64 v[229:230], v[201:202], s[34:35], v[235:236]
	v_add_f64 v[18:19], v[227:228], v[18:19]
	v_add_f64 v[10:11], v[231:232], v[10:11]
	v_fma_f64 v[158:159], v[207:208], s[26:27], -v[233:234]
	v_add_f64 v[14:15], v[150:151], v[14:15]
	v_add_f64 v[124:125], v[16:17], v[8:9]
	v_add_f64 v[150:151], v[154:155], v[152:153]
	v_fma_f64 v[8:9], v[181:182], s[20:21], -v[148:149]
	v_fma_f64 v[16:17], v[217:218], s[10:11], v[239:240]
	v_mul_f64 v[152:153], v[223:224], s[40:41]
	v_add_f64 v[18:19], v[229:230], v[18:19]
	v_add_f64 v[10:11], v[225:226], v[10:11]
	v_mul_f64 v[154:155], v[140:141], s[40:41]
	v_add_f64 v[148:149], v[158:159], v[14:15]
	v_fma_f64 v[14:15], v[215:216], s[2:3], v[237:238]
	v_mul_f64 v[158:159], v[221:222], s[18:19]
	v_mov_b32_e32 v147, v21
	v_fma_f64 v[225:226], v[177:178], s[2:3], v[152:153]
	v_add_f64 v[16:17], v[16:17], v[18:19]
	v_add_f64 v[8:9], v[8:9], v[10:11]
	v_fma_f64 v[10:11], v[211:212], s[20:21], v[156:157]
	v_mul_f64 v[156:157], v[142:143], s[18:19]
	v_fma_f64 v[227:228], v[193:194], s[2:3], -v[154:155]
	v_mov_b32_e32 v146, v20
	v_mul_f64 v[18:19], v[187:188], s[52:53]
	v_fma_f64 v[229:230], v[173:174], s[10:11], v[158:159]
	v_add_f64 v[225:226], v[86:87], v[225:226]
	v_add_f64 v[14:15], v[14:15], v[16:17]
	v_fma_f64 v[16:17], v[207:208], s[26:27], v[233:234]
	v_mul_f64 v[233:234], v[146:147], s[52:53]
	v_fma_f64 v[235:236], v[191:192], s[10:11], -v[156:157]
	v_add_f64 v[227:228], v[84:85], v[227:228]
	v_mov_b32_e32 v139, v3
	v_mov_b32_e32 v138, v2
	v_mul_f64 v[231:232], v[138:139], s[38:39]
	v_fma_f64 v[237:238], v[175:176], s[30:31], v[18:19]
	v_add_f64 v[225:226], v[229:230], v[225:226]
	v_fma_f64 v[152:153], v[177:178], s[2:3], -v[152:153]
	v_mul_f64 v[229:230], v[179:180], s[38:39]
	v_fma_f64 v[239:240], v[189:190], s[30:31], -v[233:234]
	v_add_f64 v[227:228], v[235:236], v[227:228]
	v_add_f64 v[10:11], v[10:11], v[14:15]
	v_mul_f64 v[14:15], v[251:252], s[48:49]
	v_fma_f64 v[235:236], v[171:172], s[20:21], v[231:232]
	v_add_f64 v[225:226], v[237:238], v[225:226]
	v_fma_f64 v[158:159], v[173:174], s[10:11], -v[158:159]
	v_add_f64 v[152:153], v[86:87], v[152:153]
	v_mul_f64 v[241:242], v[199:200], s[48:49]
	v_fma_f64 v[243:244], v[201:202], s[20:21], -v[229:230]
	v_add_f64 v[227:228], v[239:240], v[227:228]
	v_mul_f64 v[237:238], v[6:7], s[24:25]
	v_fma_f64 v[239:240], v[169:170], s[34:35], v[14:15]
	v_add_f64 v[225:226], v[235:236], v[225:226]
	v_fma_f64 v[18:19], v[175:176], s[30:31], -v[18:19]
	v_add_f64 v[152:153], v[158:159], v[152:153]
	v_fma_f64 v[158:159], v[217:218], s[34:35], -v[241:242]
	v_mul_f64 v[235:236], v[4:5], s[54:55]
	v_add_f64 v[227:228], v[243:244], v[227:228]
	v_fma_f64 v[243:244], v[167:168], s[16:17], v[237:238]
	v_fma_f64 v[231:232], v[171:172], s[20:21], -v[231:232]
	v_add_f64 v[225:226], v[239:240], v[225:226]
	v_fma_f64 v[154:155], v[193:194], s[2:3], v[154:155]
	v_add_f64 v[18:19], v[18:19], v[152:153]
	v_fma_f64 v[152:153], v[215:216], s[16:17], -v[245:246]
	v_fma_f64 v[12:13], v[161:162], s[26:27], -v[12:13]
	v_add_f64 v[158:159], v[158:159], v[227:228]
	v_fma_f64 v[227:228], v[181:182], s[26:27], v[235:236]
	v_fma_f64 v[14:15], v[169:170], s[34:35], -v[14:15]
	v_add_f64 v[225:226], v[243:244], v[225:226]
	v_fma_f64 v[243:244], v[211:212], s[26:27], -v[247:248]
	v_add_f64 v[18:19], v[231:232], v[18:19]
	v_mul_f64 v[231:232], v[209:210], s[46:47]
	v_fma_f64 v[156:157], v[191:192], s[10:11], v[156:157]
	v_add_f64 v[152:153], v[152:153], v[158:159]
	v_add_f64 v[154:155], v[84:85], v[154:155]
	v_fma_f64 v[237:238], v[167:168], s[16:17], -v[237:238]
	v_add_f64 v[158:159], v[12:13], v[8:9]
	v_fma_f64 v[8:9], v[189:190], s[30:31], v[233:234]
	v_add_f64 v[14:15], v[14:15], v[18:19]
	v_add_f64 v[18:19], v[227:228], v[225:226]
	v_fma_f64 v[225:226], v[207:208], s[22:23], -v[231:232]
	v_add_f64 v[152:153], v[243:244], v[152:153]
	v_add_f64 v[12:13], v[156:157], v[154:155]
	v_mul_f64 v[239:240], v[22:23], s[46:47]
	v_fma_f64 v[227:228], v[181:182], s[26:27], -v[235:236]
	v_add_f64 v[156:157], v[16:17], v[10:11]
	v_add_f64 v[14:15], v[237:238], v[14:15]
	v_fma_f64 v[10:11], v[201:202], s[20:21], v[229:230]
	v_mul_f64 v[16:17], v[223:224], s[48:49]
	v_add_f64 v[152:153], v[225:226], v[152:153]
	v_add_f64 v[8:9], v[8:9], v[12:13]
	v_mul_f64 v[225:226], v[140:141], s[48:49]
	v_fma_f64 v[249:250], v[161:162], s[22:23], v[239:240]
	v_mul_f64 v[229:230], v[221:222], s[28:29]
	v_add_f64 v[14:15], v[227:228], v[14:15]
	v_fma_f64 v[227:228], v[217:218], s[34:35], v[241:242]
	v_fma_f64 v[233:234], v[177:178], s[34:35], v[16:17]
	v_mul_f64 v[235:236], v[142:143], s[28:29]
	v_add_f64 v[8:9], v[10:11], v[8:9]
	v_fma_f64 v[10:11], v[193:194], s[34:35], -v[225:226]
	s_mov_b32 s51, 0x3fc7851a
	s_mov_b32 s50, s18
	v_add_f64 v[154:155], v[249:250], v[18:19]
	v_fma_f64 v[12:13], v[161:162], s[22:23], -v[239:240]
	v_fma_f64 v[18:19], v[215:216], s[16:17], v[245:246]
	v_mul_f64 v[237:238], v[187:188], s[50:51]
	v_fma_f64 v[239:240], v[173:174], s[26:27], v[229:230]
	v_add_f64 v[233:234], v[86:87], v[233:234]
	v_add_f64 v[8:9], v[227:228], v[8:9]
	v_mul_f64 v[241:242], v[146:147], s[50:51]
	v_fma_f64 v[243:244], v[191:192], s[26:27], -v[235:236]
	v_add_f64 v[10:11], v[84:85], v[10:11]
	v_fma_f64 v[227:228], v[211:212], s[26:27], v[247:248]
	v_mul_f64 v[245:246], v[138:139], s[52:53]
	v_fma_f64 v[247:248], v[175:176], s[10:11], v[237:238]
	v_add_f64 v[233:234], v[239:240], v[233:234]
	v_add_f64 v[8:9], v[18:19], v[8:9]
	v_mul_f64 v[18:19], v[179:180], s[52:53]
	v_fma_f64 v[239:240], v[189:190], s[10:11], -v[241:242]
	v_fma_f64 v[16:17], v[177:178], s[34:35], -v[16:17]
	v_add_f64 v[10:11], v[243:244], v[10:11]
	v_mov_b32_e32 v136, v251
	v_mov_b32_e32 v137, v252
	v_mul_f64 v[243:244], v[136:137], s[46:47]
	v_fma_f64 v[249:250], v[171:172], s[30:31], v[245:246]
	v_add_f64 v[233:234], v[247:248], v[233:234]
	v_mul_f64 v[247:248], v[199:200], s[46:47]
	v_fma_f64 v[251:252], v[201:202], s[30:31], -v[18:19]
	v_fma_f64 v[229:230], v[173:174], s[26:27], -v[229:230]
	v_add_f64 v[16:17], v[86:87], v[16:17]
	v_add_f64 v[10:11], v[239:240], v[10:11]
	v_mov_b32_e32 v133, v7
	v_mov_b32_e32 v132, v6
	v_mul_f64 v[239:240], v[132:133], s[36:37]
	v_fma_f64 v[253:254], v[169:170], s[22:23], v[243:244]
	v_add_f64 v[233:234], v[249:250], v[233:234]
	v_mul_f64 v[249:250], v[219:220], s[36:37]
	v_fma_f64 v[2:3], v[217:218], s[22:23], -v[247:248]
	v_fma_f64 v[237:238], v[175:176], s[10:11], -v[237:238]
	v_add_f64 v[16:17], v[229:230], v[16:17]
	;; [unrolled: 10-line block ×4, first 2 shown]
	v_add_f64 v[2:3], v[4:5], v[2:3]
	v_fma_f64 v[4:5], v[207:208], s[22:23], v[231:232]
	v_add_f64 v[8:9], v[227:228], v[8:9]
	buffer_store_dword v124, off, s[64:67], 0 offset:288 ; 4-byte Folded Spill
	s_nop 0
	buffer_store_dword v125, off, s[64:67], 0 offset:292 ; 4-byte Folded Spill
	buffer_store_dword v126, off, s[64:67], 0 offset:296 ; 4-byte Folded Spill
	;; [unrolled: 1-line block ×3, first 2 shown]
	v_fma_f64 v[227:228], v[161:162], s[16:17], v[237:238]
	v_add_f64 v[231:232], v[10:11], v[233:234]
	v_fma_f64 v[233:234], v[207:208], s[16:17], -v[251:252]
	v_fma_f64 v[239:240], v[167:168], s[20:21], -v[239:240]
	v_add_f64 v[16:17], v[22:23], v[16:17]
	v_add_f64 v[2:3], v[20:21], v[2:3]
	;; [unrolled: 1-line block ×4, first 2 shown]
	v_fma_f64 v[4:5], v[193:194], s[34:35], v[225:226]
	v_mul_f64 v[14:15], v[223:224], s[44:45]
	v_mul_f64 v[20:21], v[140:141], s[44:45]
	v_add_f64 v[227:228], v[227:228], v[231:232]
	v_fma_f64 v[12:13], v[181:182], s[2:3], -v[229:230]
	v_add_f64 v[16:17], v[239:240], v[16:17]
	v_add_f64 v[225:226], v[233:234], v[2:3]
	v_fma_f64 v[2:3], v[191:192], s[26:27], v[235:236]
	v_add_f64 v[4:5], v[84:85], v[4:5]
	v_mul_f64 v[233:234], v[221:222], s[40:41]
	v_fma_f64 v[229:230], v[177:178], s[22:23], v[14:15]
	v_mul_f64 v[235:236], v[142:143], s[40:41]
	v_fma_f64 v[231:232], v[193:194], s[22:23], -v[20:21]
	v_fma_f64 v[22:23], v[161:162], s[16:17], -v[237:238]
	v_add_f64 v[12:13], v[12:13], v[16:17]
	v_fma_f64 v[16:17], v[189:190], s[10:11], v[241:242]
	v_add_f64 v[2:3], v[2:3], v[4:5]
	v_mul_f64 v[4:5], v[187:188], s[28:29]
	v_fma_f64 v[237:238], v[173:174], s[2:3], v[233:234]
	v_add_f64 v[229:230], v[86:87], v[229:230]
	v_mul_f64 v[239:240], v[146:147], s[28:29]
	v_fma_f64 v[241:242], v[191:192], s[2:3], -v[235:236]
	v_add_f64 v[231:232], v[84:85], v[231:232]
	v_fma_f64 v[18:19], v[201:202], s[30:31], v[18:19]
	v_add_f64 v[2:3], v[16:17], v[2:3]
	v_mul_f64 v[16:17], v[138:139], s[18:19]
	v_fma_f64 v[243:244], v[175:176], s[26:27], v[4:5]
	v_add_f64 v[229:230], v[237:238], v[229:230]
	v_fma_f64 v[237:238], v[217:218], s[22:23], v[247:248]
	v_mul_f64 v[245:246], v[179:180], s[18:19]
	v_fma_f64 v[247:248], v[189:190], s[26:27], -v[239:240]
	v_add_f64 v[231:232], v[241:242], v[231:232]
	v_mov_b32_e32 v131, v27
	v_add_f64 v[2:3], v[18:19], v[2:3]
	v_mul_f64 v[18:19], v[136:137], s[56:57]
	v_fma_f64 v[241:242], v[171:172], s[10:11], v[16:17]
	v_add_f64 v[229:230], v[243:244], v[229:230]
	v_fma_f64 v[243:244], v[215:216], s[20:21], v[249:250]
	v_mul_f64 v[249:250], v[199:200], s[56:57]
	v_mov_b32_e32 v130, v26
	v_mov_b32_e32 v129, v25
	v_mov_b32_e32 v128, v24
	v_fma_f64 v[24:25], v[201:202], s[10:11], -v[245:246]
	v_add_f64 v[26:27], v[247:248], v[231:232]
	v_add_f64 v[2:3], v[237:238], v[2:3]
	v_mul_f64 v[237:238], v[132:133], s[52:53]
	v_fma_f64 v[231:232], v[169:170], s[16:17], v[18:19]
	v_add_f64 v[229:230], v[241:242], v[229:230]
	v_fma_f64 v[241:242], v[211:212], s[2:3], v[253:254]
	v_mul_f64 v[247:248], v[219:220], s[52:53]
	v_fma_f64 v[253:254], v[217:218], s[16:17], -v[249:250]
	v_add_f64 v[24:25], v[24:25], v[26:27]
	v_mov_b32_e32 v135, v7
	v_add_f64 v[2:3], v[243:244], v[2:3]
	v_mul_f64 v[26:27], v[6:7], s[42:43]
	v_mov_b32_e32 v134, v6
	v_fma_f64 v[243:244], v[167:168], s[30:31], v[237:238]
	v_add_f64 v[229:230], v[231:232], v[229:230]
	v_mul_f64 v[6:7], v[213:214], s[42:43]
	v_fma_f64 v[231:232], v[215:216], s[30:31], -v[247:248]
	v_add_f64 v[24:25], v[253:254], v[24:25]
	v_fma_f64 v[10:11], v[177:178], s[22:23], -v[14:15]
	v_fma_f64 v[253:254], v[181:182], s[34:35], v[26:27]
	v_fma_f64 v[20:21], v[193:194], s[22:23], v[20:21]
	v_fma_f64 v[4:5], v[175:176], s[26:27], -v[4:5]
	v_add_f64 v[243:244], v[243:244], v[229:230]
	v_fma_f64 v[14:15], v[211:212], s[34:35], -v[6:7]
	v_mul_f64 v[221:222], v[221:222], s[44:45]
	v_add_f64 v[24:25], v[231:232], v[24:25]
	v_add_f64 v[231:232], v[22:23], v[12:13]
	v_fma_f64 v[22:23], v[173:174], s[2:3], -v[233:234]
	v_add_f64 v[10:11], v[86:87], v[10:11]
	v_add_f64 v[20:21], v[84:85], v[20:21]
	v_add_f64 v[12:13], v[253:254], v[243:244]
	v_fma_f64 v[16:17], v[171:172], s[10:11], -v[16:17]
	v_add_f64 v[90:91], v[86:87], v[90:91]
	v_add_f64 v[243:244], v[14:15], v[24:25]
	v_fma_f64 v[24:25], v[181:182], s[34:35], -v[26:27]
	v_mul_f64 v[26:27], v[223:224], s[36:37]
	v_add_f64 v[10:11], v[22:23], v[10:11]
	v_fma_f64 v[223:224], v[191:192], s[2:3], v[235:236]
	v_add_f64 v[88:89], v[84:85], v[88:89]
	v_mul_f64 v[187:188], v[187:188], s[48:49]
	v_fma_f64 v[18:19], v[169:170], s[16:17], -v[18:19]
	v_add_f64 v[90:91], v[90:91], v[94:95]
	v_fma_f64 v[22:23], v[167:168], s[30:31], -v[237:238]
	v_fma_f64 v[235:236], v[177:178], s[20:21], v[26:27]
	v_add_f64 v[4:5], v[4:5], v[10:11]
	v_fma_f64 v[10:11], v[189:190], s[26:27], v[239:240]
	v_add_f64 v[20:21], v[223:224], v[20:21]
	;; [unrolled: 2-line block ×4, first 2 shown]
	v_add_f64 v[235:236], v[86:87], v[235:236]
	v_add_f64 v[4:5], v[16:17], v[4:5]
	v_fma_f64 v[16:17], v[201:202], s[10:11], v[245:246]
	v_add_f64 v[10:11], v[10:11], v[20:21]
	v_mul_f64 v[20:21], v[138:139], s[40:41]
	v_add_f64 v[88:89], v[88:89], v[96:97]
	v_add_f64 v[2:3], v[241:242], v[2:3]
	v_mul_f64 v[241:242], v[144:145], s[38:39]
	v_add_f64 v[94:95], v[223:224], v[235:236]
	v_add_f64 v[4:5], v[18:19], v[4:5]
	v_fma_f64 v[18:19], v[217:218], s[16:17], v[249:250]
	v_add_f64 v[10:11], v[16:17], v[10:11]
	v_mul_f64 v[16:17], v[136:137], s[8:9]
	v_fma_f64 v[96:97], v[171:172], s[2:3], v[20:21]
	v_add_f64 v[90:91], v[90:91], v[102:103]
	v_add_f64 v[88:89], v[88:89], v[100:101]
	;; [unrolled: 1-line block ×4, first 2 shown]
	v_fma_f64 v[14:15], v[161:162], s[20:21], -v[241:242]
	v_add_f64 v[10:11], v[18:19], v[10:11]
	v_mul_f64 v[18:19], v[132:133], s[28:29]
	v_fma_f64 v[94:95], v[169:170], s[30:31], v[16:17]
	v_mul_f64 v[8:9], v[209:210], s[38:39]
	v_fma_f64 v[26:27], v[177:178], s[20:21], -v[26:27]
	v_add_f64 v[92:93], v[96:97], v[92:93]
	v_add_f64 v[4:5], v[24:25], v[4:5]
	;; [unrolled: 1-line block ×4, first 2 shown]
	v_fma_f64 v[96:97], v[167:168], s[26:27], v[18:19]
	v_mul_f64 v[104:105], v[142:143], s[44:45]
	v_fma_f64 v[233:234], v[207:208], s[20:21], -v[8:9]
	v_add_f64 v[26:27], v[86:87], v[26:27]
	v_add_f64 v[92:93], v[94:95], v[92:93]
	;; [unrolled: 1-line block ×3, first 2 shown]
	v_fma_f64 v[4:5], v[207:208], s[20:21], v[8:9]
	v_add_f64 v[14:15], v[90:91], v[108:109]
	v_add_f64 v[8:9], v[24:25], v[110:111]
	v_mul_f64 v[108:109], v[146:147], s[48:49]
	v_fma_f64 v[110:111], v[173:174], s[22:23], -v[221:222]
	v_fma_f64 v[86:87], v[191:192], s[22:23], v[104:105]
	v_add_f64 v[90:91], v[96:97], v[92:93]
	v_mul_f64 v[96:97], v[140:141], s[36:37]
	v_fma_f64 v[104:105], v[191:192], s[22:23], -v[104:105]
	v_mul_f64 v[102:103], v[179:180], s[40:41]
	v_add_f64 v[8:9], v[8:9], v[114:115]
	v_add_f64 v[14:15], v[14:15], v[112:113]
	;; [unrolled: 1-line block ×3, first 2 shown]
	v_fma_f64 v[110:111], v[189:190], s[34:35], v[108:109]
	v_mul_f64 v[100:101], v[199:200], s[8:9]
	v_fma_f64 v[106:107], v[193:194], s[20:21], v[96:97]
	v_fma_f64 v[96:97], v[193:194], s[20:21], -v[96:97]
	v_fma_f64 v[20:21], v[171:172], s[2:3], -v[20:21]
	v_fma_f64 v[22:23], v[215:216], s[30:31], v[247:248]
	v_mul_f64 v[98:99], v[219:220], s[28:29]
	v_add_f64 v[8:9], v[8:9], v[118:119]
	v_add_f64 v[14:15], v[14:15], v[116:117]
	v_fma_f64 v[16:17], v[169:170], s[30:31], -v[16:17]
	v_add_f64 v[106:107], v[84:85], v[106:107]
	v_add_f64 v[84:85], v[84:85], v[96:97]
	v_fma_f64 v[96:97], v[175:176], s[34:35], -v[187:188]
	v_fma_f64 v[251:252], v[207:208], s[16:17], v[251:252]
	v_add_f64 v[10:11], v[22:23], v[10:11]
	v_mul_f64 v[22:23], v[134:135], s[24:25]
	v_mul_f64 v[94:95], v[213:214], s[24:25]
	v_add_f64 v[8:9], v[8:9], v[122:123]
	v_add_f64 v[86:87], v[86:87], v[106:107]
	v_fma_f64 v[106:107], v[189:190], s[34:35], -v[108:109]
	v_add_f64 v[84:85], v[104:105], v[84:85]
	v_add_f64 v[26:27], v[96:97], v[26:27]
	v_fma_f64 v[96:97], v[201:202], s[2:3], v[102:103]
	v_fma_f64 v[102:103], v[201:202], s[2:3], -v[102:103]
	v_add_f64 v[14:15], v[14:15], v[120:121]
	v_add_f64 v[229:230], v[251:252], v[2:3]
	;; [unrolled: 1-line block ×3, first 2 shown]
	v_fma_f64 v[2:3], v[161:162], s[20:21], v[241:242]
	v_add_f64 v[84:85], v[106:107], v[84:85]
	v_add_f64 v[20:21], v[20:21], v[26:27]
	v_fma_f64 v[26:27], v[217:218], s[30:31], v[100:101]
	v_fma_f64 v[24:25], v[181:182], s[16:17], v[22:23]
	v_add_f64 v[8:9], v[8:9], v[130:131]
	v_add_f64 v[14:15], v[14:15], v[128:129]
	;; [unrolled: 1-line block ×3, first 2 shown]
	v_fma_f64 v[96:97], v[217:218], s[30:31], -v[100:101]
	v_add_f64 v[84:85], v[102:103], v[84:85]
	v_add_f64 v[16:17], v[16:17], v[20:21]
	v_fma_f64 v[20:21], v[215:216], s[26:27], v[98:99]
	v_add_f64 v[90:91], v[24:25], v[90:91]
	v_add_f64 v[8:9], v[8:9], v[34:35]
	;; [unrolled: 1-line block ×4, first 2 shown]
	v_fma_f64 v[86:87], v[215:216], s[26:27], -v[98:99]
	v_add_f64 v[84:85], v[96:97], v[84:85]
	buffer_load_dword v32, off, s[64:67], 0 offset:128 ; 4-byte Folded Reload
	buffer_load_dword v33, off, s[64:67], 0 offset:132 ; 4-byte Folded Reload
	;; [unrolled: 1-line block ×4, first 2 shown]
	v_fma_f64 v[6:7], v[211:212], s[34:35], v[6:7]
	v_fma_f64 v[18:19], v[167:168], s[26:27], -v[18:19]
	v_add_f64 v[8:9], v[8:9], v[205:206]
	v_add_f64 v[14:15], v[14:15], v[203:204]
	;; [unrolled: 1-line block ×3, first 2 shown]
	v_fma_f64 v[26:27], v[211:212], s[16:17], -v[94:95]
	v_add_f64 v[84:85], v[86:87], v[84:85]
	v_mul_f64 v[92:93], v[209:210], s[18:19]
	v_add_f64 v[6:7], v[6:7], v[10:11]
	v_mul_f64 v[10:11], v[144:145], s[18:19]
	v_add_f64 v[8:9], v[8:9], v[197:198]
	v_add_f64 v[14:15], v[14:15], v[195:196]
	v_fma_f64 v[22:23], v[181:182], s[16:17], -v[22:23]
	v_add_f64 v[16:17], v[18:19], v[16:17]
	v_add_f64 v[84:85], v[26:27], v[84:85]
	;; [unrolled: 1-line block ×3, first 2 shown]
	buffer_load_dword v2, off, s[64:67], 0 offset:116 ; 4-byte Folded Reload
	buffer_load_dword v3, off, s[64:67], 0 offset:216 ; 4-byte Folded Reload
	v_fma_f64 v[18:19], v[211:212], s[16:17], v[94:95]
	v_add_f64 v[8:9], v[8:9], v[185:186]
	v_add_f64 v[14:15], v[14:15], v[183:184]
	v_fma_f64 v[86:87], v[161:162], s[10:11], -v[10:11]
	v_add_f64 v[16:17], v[22:23], v[16:17]
	v_fma_f64 v[94:95], v[207:208], s[10:11], v[92:93]
	v_fma_f64 v[10:11], v[161:162], s[10:11], v[10:11]
	v_fma_f64 v[98:99], v[207:208], s[10:11], -v[92:93]
	v_add_f64 v[96:97], v[18:19], v[20:21]
	v_add_f64 v[8:9], v[8:9], v[165:166]
	;; [unrolled: 1-line block ×11, first 2 shown]
	s_waitcnt vmcnt(0)
	v_lshl_add_u32 v2, v2, 4, v3
	ds_write_b128 v2, v[19:22]
	ds_write_b128 v2, v[15:18] offset:16
	ds_write_b128 v2, v[86:89] offset:32
	;; [unrolled: 1-line block ×5, first 2 shown]
	buffer_load_dword v159, off, s[64:67], 0 offset:192 ; 4-byte Folded Reload
	buffer_load_dword v158, off, s[64:67], 0 offset:184 ; 4-byte Folded Reload
	;; [unrolled: 1-line block ×8, first 2 shown]
	s_waitcnt vmcnt(0)
	ds_write_b128 v2, v[3:6] offset:96
	buffer_load_dword v3, off, s[64:67], 0 offset:272 ; 4-byte Folded Reload
	buffer_load_dword v4, off, s[64:67], 0 offset:276 ; 4-byte Folded Reload
	buffer_load_dword v5, off, s[64:67], 0 offset:280 ; 4-byte Folded Reload
	buffer_load_dword v6, off, s[64:67], 0 offset:284 ; 4-byte Folded Reload
	s_waitcnt vmcnt(0)
	ds_write_b128 v2, v[3:6] offset:112
	buffer_load_dword v3, off, s[64:67], 0 offset:240 ; 4-byte Folded Reload
	buffer_load_dword v4, off, s[64:67], 0 offset:244 ; 4-byte Folded Reload
	buffer_load_dword v5, off, s[64:67], 0 offset:248 ; 4-byte Folded Reload
	buffer_load_dword v6, off, s[64:67], 0 offset:252 ; 4-byte Folded Reload
	;; [unrolled: 6-line block ×5, first 2 shown]
	s_waitcnt vmcnt(0)
	ds_write_b128 v2, v[3:6] offset:176
	ds_write_b128 v2, v[148:151] offset:192
	buffer_load_dword v148, off, s[64:67], 0 offset:144 ; 4-byte Folded Reload
	buffer_load_dword v149, off, s[64:67], 0 offset:148 ; 4-byte Folded Reload
	buffer_load_dword v150, off, s[64:67], 0 offset:152 ; 4-byte Folded Reload
	buffer_load_dword v151, off, s[64:67], 0 offset:156 ; 4-byte Folded Reload
	ds_write_b128 v2, v[152:155] offset:208
	buffer_load_dword v155, off, s[64:67], 0 offset:160 ; 4-byte Folded Reload
	buffer_load_dword v153, off, s[64:67], 0 offset:120 ; 4-byte Folded Reload
	;; [unrolled: 1-line block ×3, first 2 shown]
	ds_write_b128 v2, v[225:228] offset:224
	ds_write_b128 v2, v[23:26] offset:240
	;; [unrolled: 1-line block ×3, first 2 shown]
.LBB0_13:
	s_or_b64 exec, exec, s[0:1]
	s_waitcnt vmcnt(0) lgkmcnt(0)
	s_barrier
	ds_read_b128 v[8:11], v1 offset:2720
	ds_read_b128 v[12:15], v1
	ds_read_b128 v[16:19], v1 offset:544
	ds_read_b128 v[20:23], v1 offset:3264
	ds_read_b128 v[24:27], v1 offset:3808
	ds_read_b128 v[84:87], v1 offset:2176
	s_waitcnt lgkmcnt(5)
	v_mul_f64 v[2:3], v[150:151], v[10:11]
	v_mul_f64 v[4:5], v[150:151], v[8:9]
	s_waitcnt lgkmcnt(2)
	v_mul_f64 v[6:7], v[34:35], v[22:23]
	v_mul_f64 v[30:31], v[34:35], v[20:21]
	ds_read_b128 v[88:91], v1 offset:1088
	ds_read_b128 v[92:95], v1 offset:1632
	;; [unrolled: 1-line block ×4, first 2 shown]
	s_waitcnt lgkmcnt(5)
	v_mul_f64 v[28:29], v[42:43], v[24:25]
	s_waitcnt lgkmcnt(0)
	s_barrier
	v_fma_f64 v[2:3], v[148:149], v[8:9], v[2:3]
	v_fma_f64 v[4:5], v[148:149], v[10:11], -v[4:5]
	v_fma_f64 v[6:7], v[32:33], v[20:21], v[6:7]
	v_mul_f64 v[20:21], v[42:43], v[26:27]
	v_fma_f64 v[22:23], v[32:33], v[22:23], -v[30:31]
	v_mul_f64 v[30:31], v[38:39], v[98:99]
	v_mul_f64 v[32:33], v[38:39], v[96:97]
	;; [unrolled: 1-line block ×4, first 2 shown]
	v_add_f64 v[8:9], v[12:13], -v[2:3]
	v_add_f64 v[10:11], v[14:15], -v[4:5]
	v_fma_f64 v[2:3], v[40:41], v[24:25], v[20:21]
	v_fma_f64 v[4:5], v[40:41], v[26:27], -v[28:29]
	v_fma_f64 v[28:29], v[36:37], v[96:97], v[30:31]
	v_fma_f64 v[30:31], v[36:37], v[98:99], -v[32:33]
	;; [unrolled: 2-line block ×3, first 2 shown]
	v_add_f64 v[20:21], v[16:17], -v[6:7]
	v_add_f64 v[22:23], v[18:19], -v[22:23]
	;; [unrolled: 1-line block ×6, first 2 shown]
	v_fma_f64 v[12:13], v[12:13], 2.0, -v[8:9]
	v_fma_f64 v[14:15], v[14:15], 2.0, -v[10:11]
	v_add_f64 v[32:33], v[84:85], -v[32:33]
	v_add_f64 v[34:35], v[86:87], -v[34:35]
	v_fma_f64 v[16:17], v[16:17], 2.0, -v[20:21]
	v_fma_f64 v[18:19], v[18:19], 2.0, -v[22:23]
	;; [unrolled: 1-line block ×8, first 2 shown]
	ds_write_b128 v157, v[12:15]
	ds_write_b128 v157, v[8:11] offset:272
	ds_write_b128 v156, v[16:19]
	ds_write_b128 v156, v[20:23] offset:272
	;; [unrolled: 2-line block ×5, first 2 shown]
	s_waitcnt lgkmcnt(0)
	s_barrier
	ds_read_b128 v[2:5], v1
	ds_read_b128 v[8:11], v1 offset:544
	ds_read_b128 v[12:15], v1 offset:1088
	;; [unrolled: 1-line block ×5, first 2 shown]
	s_waitcnt lgkmcnt(4)
	v_mul_f64 v[6:7], v[66:67], v[10:11]
	v_mul_f64 v[44:45], v[66:67], v[8:9]
	s_waitcnt lgkmcnt(3)
	v_mul_f64 v[46:47], v[58:59], v[14:15]
	v_mul_f64 v[58:59], v[58:59], v[12:13]
	ds_read_b128 v[28:31], v1 offset:3264
	ds_read_b128 v[32:35], v1 offset:3808
	;; [unrolled: 1-line block ×4, first 2 shown]
	s_mov_b32 s2, 0x134454ff
	s_mov_b32 s3, 0xbfee6f0e
	v_fma_f64 v[6:7], v[64:65], v[8:9], v[6:7]
	v_fma_f64 v[8:9], v[64:65], v[10:11], -v[44:45]
	s_waitcnt lgkmcnt(6)
	v_mul_f64 v[10:11], v[54:55], v[18:19]
	v_mul_f64 v[44:45], v[54:55], v[16:17]
	v_fma_f64 v[12:13], v[56:57], v[12:13], v[46:47]
	s_waitcnt lgkmcnt(5)
	v_mul_f64 v[46:47], v[50:51], v[22:23]
	v_fma_f64 v[14:15], v[56:57], v[14:15], -v[58:59]
	v_mul_f64 v[50:51], v[50:51], v[20:21]
	s_waitcnt lgkmcnt(3)
	v_mul_f64 v[56:57], v[70:71], v[30:31]
	v_mul_f64 v[54:55], v[78:79], v[26:27]
	v_fma_f64 v[10:11], v[52:53], v[16:17], v[10:11]
	v_fma_f64 v[16:17], v[52:53], v[18:19], -v[44:45]
	v_mul_f64 v[18:19], v[78:79], v[24:25]
	v_fma_f64 v[20:21], v[48:49], v[20:21], v[46:47]
	v_add_f64 v[44:45], v[2:3], v[12:13]
	v_fma_f64 v[22:23], v[48:49], v[22:23], -v[50:51]
	v_fma_f64 v[46:47], v[68:69], v[28:29], v[56:57]
	s_waitcnt lgkmcnt(1)
	v_mul_f64 v[48:49], v[74:75], v[36:37]
	v_mul_f64 v[50:51], v[74:75], v[38:39]
	v_fma_f64 v[24:25], v[76:77], v[24:25], v[54:55]
	v_fma_f64 v[18:19], v[76:77], v[26:27], -v[18:19]
	v_mul_f64 v[26:27], v[70:71], v[28:29]
	v_add_f64 v[28:29], v[44:45], v[20:21]
	v_mul_f64 v[44:45], v[62:63], v[34:35]
	v_add_f64 v[54:55], v[20:21], v[46:47]
	v_fma_f64 v[38:39], v[72:73], v[38:39], -v[48:49]
	v_fma_f64 v[36:37], v[72:73], v[36:37], v[50:51]
	s_waitcnt lgkmcnt(0)
	v_mul_f64 v[48:49], v[82:83], v[42:43]
	v_mul_f64 v[52:53], v[62:63], v[32:33]
	v_mul_f64 v[50:51], v[82:83], v[40:41]
	v_fma_f64 v[26:27], v[68:69], v[30:31], -v[26:27]
	v_fma_f64 v[30:31], v[60:61], v[32:33], v[44:45]
	v_fma_f64 v[32:33], v[54:55], -0.5, v[2:3]
	v_add_f64 v[44:45], v[14:15], -v[38:39]
	s_mov_b32 s1, 0x3fee6f0e
	v_fma_f64 v[40:41], v[80:81], v[40:41], v[48:49]
	v_add_f64 v[48:49], v[12:13], v[36:37]
	s_mov_b32 s0, s2
	v_fma_f64 v[34:35], v[60:61], v[34:35], -v[52:53]
	v_fma_f64 v[42:43], v[80:81], v[42:43], -v[50:51]
	v_add_f64 v[52:53], v[22:23], -v[26:27]
	v_fma_f64 v[50:51], v[44:45], s[2:3], v[32:33]
	v_add_f64 v[54:55], v[12:13], -v[20:21]
	v_add_f64 v[56:57], v[36:37], -v[46:47]
	v_fma_f64 v[32:33], v[44:45], s[0:1], v[32:33]
	v_fma_f64 v[1:2], v[48:49], -0.5, v[2:3]
	s_mov_b32 s16, 0x4755a5e
	s_mov_b32 s17, 0xbfe2cf23
	;; [unrolled: 1-line block ×4, first 2 shown]
	v_add_f64 v[28:29], v[28:29], v[46:47]
	v_fma_f64 v[48:49], v[52:53], s[16:17], v[50:51]
	v_add_f64 v[50:51], v[54:55], v[56:57]
	v_add_f64 v[54:55], v[22:23], v[26:27]
	v_fma_f64 v[32:33], v[52:53], s[8:9], v[32:33]
	v_fma_f64 v[56:57], v[52:53], s[0:1], v[1:2]
	v_add_f64 v[58:59], v[20:21], -v[12:13]
	v_add_f64 v[60:61], v[46:47], -v[36:37]
	v_add_f64 v[62:63], v[4:5], v[14:15]
	v_fma_f64 v[1:2], v[52:53], s[2:3], v[1:2]
	s_mov_b32 s10, 0x372fe950
	s_mov_b32 s11, 0x3fd3c6ef
	v_add_f64 v[28:29], v[28:29], v[36:37]
	v_fma_f64 v[54:55], v[54:55], -0.5, v[4:5]
	v_add_f64 v[12:13], v[12:13], -v[36:37]
	v_fma_f64 v[36:37], v[50:51], s[10:11], v[48:49]
	v_fma_f64 v[48:49], v[50:51], s[10:11], v[32:33]
	;; [unrolled: 1-line block ×3, first 2 shown]
	v_add_f64 v[50:51], v[58:59], v[60:61]
	v_add_f64 v[52:53], v[62:63], v[22:23]
	v_fma_f64 v[1:2], v[44:45], s[8:9], v[1:2]
	v_add_f64 v[20:21], v[20:21], -v[46:47]
	v_fma_f64 v[56:57], v[12:13], s[0:1], v[54:55]
	v_add_f64 v[46:47], v[14:15], -v[22:23]
	v_add_f64 v[58:59], v[38:39], -v[26:27]
	v_fma_f64 v[54:55], v[12:13], s[2:3], v[54:55]
	v_add_f64 v[60:61], v[14:15], v[38:39]
	v_add_f64 v[44:45], v[52:53], v[26:27]
	v_fma_f64 v[32:33], v[50:51], s[10:11], v[32:33]
	v_add_f64 v[52:53], v[24:25], v[30:31]
	v_fma_f64 v[50:51], v[50:51], s[10:11], v[1:2]
	;; [unrolled: 2-line block ×4, first 2 shown]
	v_fma_f64 v[3:4], v[60:61], -0.5, v[4:5]
	v_add_f64 v[58:59], v[16:17], -v[42:43]
	v_fma_f64 v[52:53], v[52:53], -0.5, v[6:7]
	v_add_f64 v[44:45], v[44:45], v[38:39]
	v_add_f64 v[1:2], v[1:2], v[24:25]
	v_add_f64 v[14:15], v[22:23], -v[14:15]
	v_fma_f64 v[56:57], v[46:47], s[10:11], v[56:57]
	v_fma_f64 v[46:47], v[46:47], s[10:11], v[54:55]
	;; [unrolled: 1-line block ×3, first 2 shown]
	v_add_f64 v[22:23], v[26:27], -v[38:39]
	v_fma_f64 v[3:4], v[20:21], s[0:1], v[3:4]
	v_fma_f64 v[20:21], v[58:59], s[2:3], v[52:53]
	v_add_f64 v[26:27], v[18:19], -v[34:35]
	v_add_f64 v[38:39], v[10:11], -v[24:25]
	;; [unrolled: 1-line block ×3, first 2 shown]
	v_add_f64 v[62:63], v[10:11], v[40:41]
	v_add_f64 v[64:65], v[18:19], v[34:35]
	;; [unrolled: 1-line block ×3, first 2 shown]
	v_fma_f64 v[54:55], v[12:13], s[8:9], v[54:55]
	v_add_f64 v[14:15], v[14:15], v[22:23]
	v_fma_f64 v[3:4], v[12:13], s[16:17], v[3:4]
	v_fma_f64 v[12:13], v[26:27], s[16:17], v[20:21]
	v_add_f64 v[20:21], v[38:39], v[60:61]
	v_fma_f64 v[5:6], v[62:63], -0.5, v[6:7]
	v_fma_f64 v[22:23], v[58:59], s[0:1], v[52:53]
	v_fma_f64 v[38:39], v[64:65], -0.5, v[8:9]
	v_add_f64 v[52:53], v[10:11], -v[40:41]
	v_add_f64 v[62:63], v[1:2], v[40:41]
	v_add_f64 v[1:2], v[16:17], v[42:43]
	v_fma_f64 v[54:55], v[14:15], s[10:11], v[54:55]
	v_fma_f64 v[60:61], v[14:15], s[10:11], v[3:4]
	v_add_f64 v[64:65], v[24:25], -v[30:31]
	v_fma_f64 v[14:15], v[26:27], s[8:9], v[22:23]
	v_add_f64 v[66:67], v[16:17], -v[18:19]
	;; [unrolled: 2-line block ×3, first 2 shown]
	v_fma_f64 v[1:2], v[1:2], -0.5, v[8:9]
	v_add_f64 v[7:8], v[8:9], v[16:17]
	v_fma_f64 v[3:4], v[26:27], s[0:1], v[5:6]
	v_add_f64 v[10:11], v[24:25], -v[10:11]
	v_add_f64 v[24:25], v[30:31], -v[40:41]
	v_fma_f64 v[5:6], v[26:27], s[2:3], v[5:6]
	v_fma_f64 v[22:23], v[64:65], s[8:9], v[22:23]
	v_add_f64 v[26:27], v[66:67], v[68:69]
	v_fma_f64 v[30:31], v[64:65], s[2:3], v[1:2]
	v_add_f64 v[16:17], v[18:19], -v[16:17]
	v_add_f64 v[40:41], v[34:35], -v[42:43]
	v_fma_f64 v[1:2], v[64:65], s[0:1], v[1:2]
	v_add_f64 v[7:8], v[7:8], v[18:19]
	v_fma_f64 v[18:19], v[52:53], s[2:3], v[38:39]
	v_fma_f64 v[3:4], v[58:59], s[16:17], v[3:4]
	v_add_f64 v[9:10], v[10:11], v[24:25]
	v_fma_f64 v[5:6], v[58:59], s[8:9], v[5:6]
	v_fma_f64 v[22:23], v[26:27], s[10:11], v[22:23]
	;; [unrolled: 1-line block ×3, first 2 shown]
	v_add_f64 v[16:17], v[16:17], v[40:41]
	v_fma_f64 v[1:2], v[52:53], s[16:17], v[1:2]
	v_add_f64 v[7:8], v[7:8], v[34:35]
	v_fma_f64 v[18:19], v[64:65], s[16:17], v[18:19]
	v_fma_f64 v[12:13], v[20:21], s[10:11], v[12:13]
	;; [unrolled: 1-line block ×5, first 2 shown]
	v_mul_f64 v[9:10], v[22:23], s[16:17]
	v_fma_f64 v[20:21], v[16:17], s[10:11], v[24:25]
	v_fma_f64 v[16:17], v[16:17], s[10:11], v[1:2]
	v_add_f64 v[30:31], v[7:8], v[42:43]
	v_fma_f64 v[7:8], v[26:27], s[10:11], v[18:19]
	s_mov_b32 s18, 0x9b97f4a8
	s_mov_b32 s19, 0x3fe9e377
	v_mul_f64 v[22:23], v[22:23], s[18:19]
	v_fma_f64 v[26:27], v[12:13], s[18:19], v[9:10]
	v_mul_f64 v[9:10], v[20:21], s[2:3]
	v_mul_f64 v[18:19], v[16:17], s[2:3]
	s_mov_b32 s3, 0xbfd3c6ef
	s_mov_b32 s2, s10
	v_mul_f64 v[20:21], v[20:21], s[10:11]
	v_mul_f64 v[24:25], v[7:8], s[16:17]
	s_mov_b32 s17, 0xbfe9e377
	s_mov_b32 s16, s18
	v_mul_f64 v[16:17], v[16:17], s[2:3]
	v_mul_f64 v[34:35], v[7:8], s[16:17]
	v_fma_f64 v[52:53], v[12:13], s[8:9], v[22:23]
	v_fma_f64 v[38:39], v[3:4], s[10:11], v[9:10]
	;; [unrolled: 1-line block ×5, first 2 shown]
	v_add_f64 v[1:2], v[28:29], v[62:63]
	v_fma_f64 v[5:6], v[5:6], s[0:1], v[16:17]
	v_fma_f64 v[64:65], v[14:15], s[8:9], v[34:35]
	v_add_f64 v[3:4], v[44:45], v[30:31]
	v_add_f64 v[8:9], v[36:37], v[26:27]
	;; [unrolled: 1-line block ×9, first 2 shown]
	v_add_f64 v[24:25], v[28:29], -v[62:63]
	v_add_f64 v[28:29], v[36:37], -v[26:27]
	v_add_f64 v[26:27], v[44:45], -v[30:31]
	v_add_f64 v[30:31], v[56:57], -v[52:53]
	v_add_f64 v[32:33], v[32:33], -v[38:39]
	v_add_f64 v[34:35], v[54:55], -v[58:59]
	v_add_f64 v[36:37], v[50:51], -v[40:41]
	v_add_f64 v[40:41], v[48:49], -v[42:43]
	v_add_f64 v[38:39], v[60:61], -v[5:6]
	v_add_f64 v[42:43], v[46:47], -v[64:65]
	ds_write_b128 v255, v[1:4]
	ds_write_b128 v0, v[8:11] offset:544
	ds_write_b128 v0, v[12:15] offset:1088
	;; [unrolled: 1-line block ×9, first 2 shown]
	s_waitcnt lgkmcnt(0)
	s_barrier
	s_and_b64 exec, exec, vcc
	s_cbranch_execz .LBB0_15
; %bb.14:
	global_load_dwordx4 v[1:4], v153, s[12:13]
	ds_read_b128 v[5:8], v255
	v_mad_u64_u32 v[13:14], s[0:1], s6, v160, 0
	v_mad_u64_u32 v[15:16], s[0:1], s4, v152, 0
	ds_read_b128 v[9:12], v0 offset:320
	s_mul_i32 s3, s5, 0x140
	v_mad_u64_u32 v[19:20], s[0:1], s7, v160, v[14:15]
	s_mul_hi_u32 s6, s4, 0x140
	s_mul_i32 s2, s4, 0x140
	v_mov_b32_e32 v14, v19
	s_add_i32 s3, s6, s3
	s_waitcnt vmcnt(0) lgkmcnt(1)
	v_mul_f64 v[17:18], v[7:8], v[3:4]
	v_mul_f64 v[3:4], v[5:6], v[3:4]
	v_fma_f64 v[5:6], v[5:6], v[1:2], v[17:18]
	v_fma_f64 v[1:2], v[1:2], v[7:8], -v[3:4]
	v_mad_u64_u32 v[20:21], s[0:1], s5, v152, v[16:17]
	s_mov_b32 s0, 0x18181818
	s_mov_b32 s1, 0x3f681818
	v_lshlrev_b64 v[7:8], 4, v[13:14]
	v_mov_b32_e32 v16, v20
	v_mul_f64 v[3:4], v[5:6], s[0:1]
	v_mul_f64 v[5:6], v[1:2], s[0:1]
	v_mov_b32_e32 v17, s15
	v_lshlrev_b64 v[13:14], 4, v[15:16]
	v_add_co_u32_e32 v1, vcc, s14, v7
	v_addc_co_u32_e32 v2, vcc, v17, v8, vcc
	v_add_co_u32_e32 v7, vcc, v1, v13
	v_addc_co_u32_e32 v8, vcc, v2, v14, vcc
	global_store_dwordx4 v[7:8], v[3:6], off
	global_load_dwordx4 v[3:6], v153, s[12:13] offset:320
	v_add_co_u32_e32 v15, vcc, s2, v7
	v_or_b32_e32 v21, 0xa0, v152
	v_mad_u64_u32 v[19:20], s[6:7], s4, v21, 0
	s_waitcnt vmcnt(0) lgkmcnt(0)
	v_mul_f64 v[13:14], v[11:12], v[5:6]
	v_mul_f64 v[5:6], v[9:10], v[5:6]
	v_fma_f64 v[9:10], v[9:10], v[3:4], v[13:14]
	v_fma_f64 v[5:6], v[3:4], v[11:12], -v[5:6]
	v_mul_f64 v[3:4], v[9:10], s[0:1]
	v_mul_f64 v[5:6], v[5:6], s[0:1]
	v_mov_b32_e32 v9, s3
	v_addc_co_u32_e32 v16, vcc, v8, v9, vcc
	global_store_dwordx4 v[15:16], v[3:6], off
	global_load_dwordx4 v[3:6], v153, s[12:13] offset:640
	ds_read_b128 v[7:10], v0 offset:640
	ds_read_b128 v[11:14], v0 offset:960
	s_waitcnt vmcnt(0) lgkmcnt(1)
	v_mul_f64 v[17:18], v[9:10], v[5:6]
	v_mul_f64 v[5:6], v[7:8], v[5:6]
	v_fma_f64 v[7:8], v[7:8], v[3:4], v[17:18]
	v_fma_f64 v[5:6], v[3:4], v[9:10], -v[5:6]
	v_mul_f64 v[3:4], v[7:8], s[0:1]
	v_mul_f64 v[5:6], v[5:6], s[0:1]
	v_mov_b32_e32 v8, s3
	v_add_co_u32_e32 v7, vcc, s2, v15
	v_addc_co_u32_e32 v8, vcc, v16, v8, vcc
	v_add_co_u32_e32 v15, vcc, s2, v7
	global_store_dwordx4 v[7:8], v[3:6], off
	global_load_dwordx4 v[3:6], v153, s[12:13] offset:960
	s_waitcnt vmcnt(0) lgkmcnt(0)
	v_mul_f64 v[9:10], v[13:14], v[5:6]
	v_mul_f64 v[5:6], v[11:12], v[5:6]
	v_fma_f64 v[9:10], v[11:12], v[3:4], v[9:10]
	v_fma_f64 v[5:6], v[3:4], v[13:14], -v[5:6]
	v_mul_f64 v[3:4], v[9:10], s[0:1]
	v_mul_f64 v[5:6], v[5:6], s[0:1]
	v_mov_b32_e32 v9, s3
	v_addc_co_u32_e32 v16, vcc, v8, v9, vcc
	global_store_dwordx4 v[15:16], v[3:6], off
	global_load_dwordx4 v[3:6], v153, s[12:13] offset:1280
	ds_read_b128 v[7:10], v0 offset:1280
	ds_read_b128 v[11:14], v0 offset:1600
	s_waitcnt vmcnt(0) lgkmcnt(1)
	v_mul_f64 v[17:18], v[9:10], v[5:6]
	v_mul_f64 v[5:6], v[7:8], v[5:6]
	v_fma_f64 v[7:8], v[7:8], v[3:4], v[17:18]
	v_fma_f64 v[5:6], v[3:4], v[9:10], -v[5:6]
	v_mul_f64 v[3:4], v[7:8], s[0:1]
	v_mul_f64 v[5:6], v[5:6], s[0:1]
	v_mov_b32_e32 v8, s3
	v_add_co_u32_e32 v7, vcc, s2, v15
	v_addc_co_u32_e32 v8, vcc, v16, v8, vcc
	v_add_co_u32_e32 v15, vcc, s2, v7
	global_store_dwordx4 v[7:8], v[3:6], off
	global_load_dwordx4 v[3:6], v153, s[12:13] offset:1600
	;; [unrolled: 26-line block ×3, first 2 shown]
	s_waitcnt vmcnt(0) lgkmcnt(0)
	v_mul_f64 v[9:10], v[13:14], v[5:6]
	v_mul_f64 v[5:6], v[11:12], v[5:6]
	v_fma_f64 v[9:10], v[11:12], v[3:4], v[9:10]
	v_fma_f64 v[5:6], v[3:4], v[13:14], -v[5:6]
	v_mul_f64 v[3:4], v[9:10], s[0:1]
	v_mul_f64 v[5:6], v[5:6], s[0:1]
	v_mov_b32_e32 v9, s3
	v_addc_co_u32_e32 v16, vcc, v8, v9, vcc
	global_store_dwordx4 v[15:16], v[3:6], off
	global_load_dwordx4 v[3:6], v153, s[12:13] offset:2560
	ds_read_b128 v[7:10], v0 offset:2560
	ds_read_b128 v[11:14], v0 offset:2880
	s_waitcnt vmcnt(0) lgkmcnt(1)
	v_mul_f64 v[17:18], v[9:10], v[5:6]
	v_mul_f64 v[5:6], v[7:8], v[5:6]
	v_fma_f64 v[7:8], v[7:8], v[3:4], v[17:18]
	v_fma_f64 v[5:6], v[3:4], v[9:10], -v[5:6]
	v_mov_b32_e32 v3, v20
	v_mad_u64_u32 v[9:10], s[6:7], s5, v21, v[3:4]
	v_mov_b32_e32 v20, v9
	v_mul_f64 v[3:4], v[7:8], s[0:1]
	v_mul_f64 v[5:6], v[5:6], s[0:1]
	v_lshlrev_b64 v[7:8], 4, v[19:20]
	v_mov_b32_e32 v19, s13
	v_add_co_u32_e32 v7, vcc, v1, v7
	v_addc_co_u32_e32 v8, vcc, v2, v8, vcc
	global_store_dwordx4 v[7:8], v[3:6], off
	global_load_dwordx4 v[3:6], v153, s[12:13] offset:2880
	s_waitcnt vmcnt(0) lgkmcnt(0)
	v_mul_f64 v[7:8], v[13:14], v[5:6]
	v_mul_f64 v[5:6], v[11:12], v[5:6]
	v_fma_f64 v[7:8], v[11:12], v[3:4], v[7:8]
	v_fma_f64 v[5:6], v[3:4], v[13:14], -v[5:6]
	v_mul_f64 v[3:4], v[7:8], s[0:1]
	v_mul_f64 v[5:6], v[5:6], s[0:1]
	v_mov_b32_e32 v7, 0x280
	v_mad_u64_u32 v[15:16], s[6:7], s4, v7, v[15:16]
	s_mul_i32 s6, s5, 0x280
	v_add_u32_e32 v16, s6, v16
	s_movk_i32 s6, 0x1000
	global_store_dwordx4 v[15:16], v[3:6], off
	global_load_dwordx4 v[3:6], v153, s[12:13] offset:3200
	ds_read_b128 v[7:10], v0 offset:3200
	ds_read_b128 v[11:14], v0 offset:3520
	s_waitcnt vmcnt(0) lgkmcnt(1)
	v_mul_f64 v[17:18], v[9:10], v[5:6]
	v_mul_f64 v[5:6], v[7:8], v[5:6]
	v_fma_f64 v[7:8], v[7:8], v[3:4], v[17:18]
	v_fma_f64 v[5:6], v[3:4], v[9:10], -v[5:6]
	v_mul_f64 v[3:4], v[7:8], s[0:1]
	v_mul_f64 v[5:6], v[5:6], s[0:1]
	v_mov_b32_e32 v8, s3
	v_add_co_u32_e32 v7, vcc, s2, v15
	v_addc_co_u32_e32 v8, vcc, v16, v8, vcc
	v_add_co_u32_e32 v15, vcc, s2, v7
	global_store_dwordx4 v[7:8], v[3:6], off
	global_load_dwordx4 v[3:6], v153, s[12:13] offset:3520
	s_waitcnt vmcnt(0) lgkmcnt(0)
	v_mul_f64 v[9:10], v[13:14], v[5:6]
	v_mul_f64 v[5:6], v[11:12], v[5:6]
	v_fma_f64 v[9:10], v[11:12], v[3:4], v[9:10]
	v_fma_f64 v[5:6], v[3:4], v[13:14], -v[5:6]
	v_mul_f64 v[3:4], v[9:10], s[0:1]
	v_mul_f64 v[5:6], v[5:6], s[0:1]
	v_mov_b32_e32 v9, s3
	v_addc_co_u32_e32 v16, vcc, v8, v9, vcc
	global_store_dwordx4 v[15:16], v[3:6], off
	global_load_dwordx4 v[3:6], v153, s[12:13] offset:3840
	ds_read_b128 v[7:10], v0 offset:3840
	ds_read_b128 v[11:14], v0 offset:4160
	s_waitcnt vmcnt(0) lgkmcnt(1)
	v_mul_f64 v[17:18], v[9:10], v[5:6]
	v_mul_f64 v[5:6], v[7:8], v[5:6]
	v_fma_f64 v[7:8], v[7:8], v[3:4], v[17:18]
	v_fma_f64 v[5:6], v[3:4], v[9:10], -v[5:6]
	v_add_co_u32_e32 v9, vcc, s12, v153
	v_addc_co_u32_e32 v10, vcc, 0, v19, vcc
	v_add_co_u32_e32 v17, vcc, s6, v9
	v_mul_f64 v[3:4], v[7:8], s[0:1]
	v_mul_f64 v[5:6], v[5:6], s[0:1]
	v_addc_co_u32_e32 v18, vcc, 0, v10, vcc
	v_mov_b32_e32 v19, s3
	v_add_co_u32_e32 v7, vcc, s2, v15
	v_addc_co_u32_e32 v8, vcc, v16, v19, vcc
	global_store_dwordx4 v[7:8], v[3:6], off
	global_load_dwordx4 v[3:6], v[17:18], off offset:64
	v_add_co_u32_e32 v15, vcc, s2, v7
	s_waitcnt vmcnt(0) lgkmcnt(0)
	v_mul_f64 v[9:10], v[13:14], v[5:6]
	v_mul_f64 v[5:6], v[11:12], v[5:6]
	v_fma_f64 v[9:10], v[11:12], v[3:4], v[9:10]
	v_fma_f64 v[5:6], v[3:4], v[13:14], -v[5:6]
	v_mul_f64 v[3:4], v[9:10], s[0:1]
	v_mul_f64 v[5:6], v[5:6], s[0:1]
	v_mov_b32_e32 v9, s3
	v_addc_co_u32_e32 v16, vcc, v8, v9, vcc
	global_store_dwordx4 v[15:16], v[3:6], off
	global_load_dwordx4 v[3:6], v[17:18], off offset:384
	ds_read_b128 v[7:10], v0 offset:4480
	ds_read_b128 v[11:14], v0 offset:4800
	s_waitcnt vmcnt(0) lgkmcnt(1)
	v_mul_f64 v[19:20], v[9:10], v[5:6]
	v_mul_f64 v[5:6], v[7:8], v[5:6]
	v_fma_f64 v[7:8], v[7:8], v[3:4], v[19:20]
	v_fma_f64 v[5:6], v[3:4], v[9:10], -v[5:6]
	v_mul_f64 v[3:4], v[7:8], s[0:1]
	v_mul_f64 v[5:6], v[5:6], s[0:1]
	v_mov_b32_e32 v8, s3
	v_add_co_u32_e32 v7, vcc, s2, v15
	v_addc_co_u32_e32 v8, vcc, v16, v8, vcc
	global_store_dwordx4 v[7:8], v[3:6], off
	global_load_dwordx4 v[3:6], v[17:18], off offset:704
	v_add_co_u32_e32 v7, vcc, s2, v7
	s_waitcnt vmcnt(0) lgkmcnt(0)
	v_mul_f64 v[9:10], v[13:14], v[5:6]
	v_mul_f64 v[5:6], v[11:12], v[5:6]
	v_fma_f64 v[9:10], v[11:12], v[3:4], v[9:10]
	v_fma_f64 v[5:6], v[3:4], v[13:14], -v[5:6]
	v_or_b32_e32 v13, 0x140, v152
	v_mul_f64 v[3:4], v[9:10], s[0:1]
	v_mul_f64 v[5:6], v[5:6], s[0:1]
	v_mov_b32_e32 v10, s3
	v_addc_co_u32_e32 v8, vcc, v8, v10, vcc
	v_lshlrev_b32_e32 v9, 4, v13
	global_store_dwordx4 v[7:8], v[3:6], off
	global_load_dwordx4 v[3:6], v9, s[12:13]
	ds_read_b128 v[7:10], v0 offset:5120
	s_waitcnt vmcnt(0) lgkmcnt(0)
	v_mul_f64 v[11:12], v[9:10], v[5:6]
	v_mul_f64 v[5:6], v[7:8], v[5:6]
	v_fma_f64 v[7:8], v[7:8], v[3:4], v[11:12]
	v_fma_f64 v[5:6], v[3:4], v[9:10], -v[5:6]
	v_mad_u64_u32 v[9:10], s[2:3], s4, v13, 0
	v_mov_b32_e32 v0, v10
	v_mad_u64_u32 v[10:11], s[2:3], s5, v13, v[0:1]
	v_mul_f64 v[3:4], v[7:8], s[0:1]
	v_mul_f64 v[5:6], v[5:6], s[0:1]
	v_lshlrev_b64 v[7:8], 4, v[9:10]
	v_add_co_u32_e32 v0, vcc, v1, v7
	v_addc_co_u32_e32 v1, vcc, v2, v8, vcc
	global_store_dwordx4 v[0:1], v[3:6], off
.LBB0_15:
	s_endpgm
	.section	.rodata,"a",@progbits
	.p2align	6, 0x0
	.amdhsa_kernel bluestein_single_back_len340_dim1_dp_op_CI_CI
		.amdhsa_group_segment_fixed_size 16320
		.amdhsa_private_segment_fixed_size 676
		.amdhsa_kernarg_size 104
		.amdhsa_user_sgpr_count 6
		.amdhsa_user_sgpr_private_segment_buffer 1
		.amdhsa_user_sgpr_dispatch_ptr 0
		.amdhsa_user_sgpr_queue_ptr 0
		.amdhsa_user_sgpr_kernarg_segment_ptr 1
		.amdhsa_user_sgpr_dispatch_id 0
		.amdhsa_user_sgpr_flat_scratch_init 0
		.amdhsa_user_sgpr_private_segment_size 0
		.amdhsa_uses_dynamic_stack 0
		.amdhsa_system_sgpr_private_segment_wavefront_offset 1
		.amdhsa_system_sgpr_workgroup_id_x 1
		.amdhsa_system_sgpr_workgroup_id_y 0
		.amdhsa_system_sgpr_workgroup_id_z 0
		.amdhsa_system_sgpr_workgroup_info 0
		.amdhsa_system_vgpr_workitem_id 0
		.amdhsa_next_free_vgpr 256
		.amdhsa_next_free_sgpr 68
		.amdhsa_reserve_vcc 1
		.amdhsa_reserve_flat_scratch 0
		.amdhsa_float_round_mode_32 0
		.amdhsa_float_round_mode_16_64 0
		.amdhsa_float_denorm_mode_32 3
		.amdhsa_float_denorm_mode_16_64 3
		.amdhsa_dx10_clamp 1
		.amdhsa_ieee_mode 1
		.amdhsa_fp16_overflow 0
		.amdhsa_exception_fp_ieee_invalid_op 0
		.amdhsa_exception_fp_denorm_src 0
		.amdhsa_exception_fp_ieee_div_zero 0
		.amdhsa_exception_fp_ieee_overflow 0
		.amdhsa_exception_fp_ieee_underflow 0
		.amdhsa_exception_fp_ieee_inexact 0
		.amdhsa_exception_int_div_zero 0
	.end_amdhsa_kernel
	.text
.Lfunc_end0:
	.size	bluestein_single_back_len340_dim1_dp_op_CI_CI, .Lfunc_end0-bluestein_single_back_len340_dim1_dp_op_CI_CI
                                        ; -- End function
	.section	.AMDGPU.csdata,"",@progbits
; Kernel info:
; codeLenInByte = 27584
; NumSgprs: 72
; NumVgprs: 256
; ScratchSize: 676
; MemoryBound: 0
; FloatMode: 240
; IeeeMode: 1
; LDSByteSize: 16320 bytes/workgroup (compile time only)
; SGPRBlocks: 8
; VGPRBlocks: 63
; NumSGPRsForWavesPerEU: 72
; NumVGPRsForWavesPerEU: 256
; Occupancy: 1
; WaveLimiterHint : 1
; COMPUTE_PGM_RSRC2:SCRATCH_EN: 1
; COMPUTE_PGM_RSRC2:USER_SGPR: 6
; COMPUTE_PGM_RSRC2:TRAP_HANDLER: 0
; COMPUTE_PGM_RSRC2:TGID_X_EN: 1
; COMPUTE_PGM_RSRC2:TGID_Y_EN: 0
; COMPUTE_PGM_RSRC2:TGID_Z_EN: 0
; COMPUTE_PGM_RSRC2:TIDIG_COMP_CNT: 0
	.type	__hip_cuid_d66bdba5afb5106,@object ; @__hip_cuid_d66bdba5afb5106
	.section	.bss,"aw",@nobits
	.globl	__hip_cuid_d66bdba5afb5106
__hip_cuid_d66bdba5afb5106:
	.byte	0                               ; 0x0
	.size	__hip_cuid_d66bdba5afb5106, 1

	.ident	"AMD clang version 19.0.0git (https://github.com/RadeonOpenCompute/llvm-project roc-6.4.0 25133 c7fe45cf4b819c5991fe208aaa96edf142730f1d)"
	.section	".note.GNU-stack","",@progbits
	.addrsig
	.addrsig_sym __hip_cuid_d66bdba5afb5106
	.amdgpu_metadata
---
amdhsa.kernels:
  - .args:
      - .actual_access:  read_only
        .address_space:  global
        .offset:         0
        .size:           8
        .value_kind:     global_buffer
      - .actual_access:  read_only
        .address_space:  global
        .offset:         8
        .size:           8
        .value_kind:     global_buffer
      - .actual_access:  read_only
        .address_space:  global
        .offset:         16
        .size:           8
        .value_kind:     global_buffer
      - .actual_access:  read_only
        .address_space:  global
        .offset:         24
        .size:           8
        .value_kind:     global_buffer
      - .actual_access:  read_only
        .address_space:  global
        .offset:         32
        .size:           8
        .value_kind:     global_buffer
      - .offset:         40
        .size:           8
        .value_kind:     by_value
      - .address_space:  global
        .offset:         48
        .size:           8
        .value_kind:     global_buffer
      - .address_space:  global
        .offset:         56
        .size:           8
        .value_kind:     global_buffer
      - .address_space:  global
        .offset:         64
        .size:           8
        .value_kind:     global_buffer
      - .address_space:  global
        .offset:         72
        .size:           8
        .value_kind:     global_buffer
      - .offset:         80
        .size:           4
        .value_kind:     by_value
      - .address_space:  global
        .offset:         88
        .size:           8
        .value_kind:     global_buffer
      - .address_space:  global
        .offset:         96
        .size:           8
        .value_kind:     global_buffer
    .group_segment_fixed_size: 16320
    .kernarg_segment_align: 8
    .kernarg_segment_size: 104
    .language:       OpenCL C
    .language_version:
      - 2
      - 0
    .max_flat_workgroup_size: 102
    .name:           bluestein_single_back_len340_dim1_dp_op_CI_CI
    .private_segment_fixed_size: 676
    .sgpr_count:     72
    .sgpr_spill_count: 0
    .symbol:         bluestein_single_back_len340_dim1_dp_op_CI_CI.kd
    .uniform_work_group_size: 1
    .uses_dynamic_stack: false
    .vgpr_count:     256
    .vgpr_spill_count: 219
    .wavefront_size: 64
amdhsa.target:   amdgcn-amd-amdhsa--gfx906
amdhsa.version:
  - 1
  - 2
...

	.end_amdgpu_metadata
